;; amdgpu-corpus repo=ROCm/rocFFT kind=compiled arch=gfx950 opt=O3
	.text
	.amdgcn_target "amdgcn-amd-amdhsa--gfx950"
	.amdhsa_code_object_version 6
	.protected	fft_rtc_fwd_len968_factors_2_2_2_11_11_wgs_176_tpt_88_sp_op_CI_CI_unitstride_sbrr_C2R_dirReg ; -- Begin function fft_rtc_fwd_len968_factors_2_2_2_11_11_wgs_176_tpt_88_sp_op_CI_CI_unitstride_sbrr_C2R_dirReg
	.globl	fft_rtc_fwd_len968_factors_2_2_2_11_11_wgs_176_tpt_88_sp_op_CI_CI_unitstride_sbrr_C2R_dirReg
	.p2align	8
	.type	fft_rtc_fwd_len968_factors_2_2_2_11_11_wgs_176_tpt_88_sp_op_CI_CI_unitstride_sbrr_C2R_dirReg,@function
fft_rtc_fwd_len968_factors_2_2_2_11_11_wgs_176_tpt_88_sp_op_CI_CI_unitstride_sbrr_C2R_dirReg: ; @fft_rtc_fwd_len968_factors_2_2_2_11_11_wgs_176_tpt_88_sp_op_CI_CI_unitstride_sbrr_C2R_dirReg
; %bb.0:
	s_load_dwordx4 s[4:7], s[0:1], 0x58
	s_load_dwordx4 s[8:11], s[0:1], 0x0
	;; [unrolled: 1-line block ×3, first 2 shown]
	v_mul_u32_u24_e32 v1, 0x2e9, v0
	v_lshrrev_b32_e32 v1, 16, v1
	v_lshl_add_u32 v6, s2, 1, v1
	v_mov_b32_e32 v4, 0
	s_waitcnt lgkmcnt(0)
	v_cmp_lt_u64_e64 s[2:3], s[10:11], 2
	v_mov_b32_e32 v7, v4
	s_and_b64 vcc, exec, s[2:3]
	v_mov_b64_e32 v[2:3], 0
	s_cbranch_vccnz .LBB0_8
; %bb.1:
	s_load_dwordx2 s[2:3], s[0:1], 0x10
	s_add_u32 s16, s14, 8
	s_addc_u32 s17, s15, 0
	s_add_u32 s18, s12, 8
	s_addc_u32 s19, s13, 0
	s_waitcnt lgkmcnt(0)
	s_add_u32 s20, s2, 8
	v_mov_b64_e32 v[2:3], 0
	s_addc_u32 s21, s3, 0
	s_mov_b64 s[22:23], 1
	v_mov_b64_e32 v[16:17], v[2:3]
.LBB0_2:                                ; =>This Inner Loop Header: Depth=1
	s_load_dwordx2 s[24:25], s[20:21], 0x0
                                        ; implicit-def: $vgpr18_vgpr19
	s_waitcnt lgkmcnt(0)
	v_or_b32_e32 v5, s25, v7
	v_cmp_ne_u64_e32 vcc, 0, v[4:5]
	s_and_saveexec_b64 s[2:3], vcc
	s_xor_b64 s[26:27], exec, s[2:3]
	s_cbranch_execz .LBB0_4
; %bb.3:                                ;   in Loop: Header=BB0_2 Depth=1
	v_cvt_f32_u32_e32 v5, s24
	v_cvt_f32_u32_e32 v8, s25
	s_sub_u32 s2, 0, s24
	s_subb_u32 s3, 0, s25
	v_fmac_f32_e32 v5, 0x4f800000, v8
	v_rcp_f32_e32 v5, v5
	s_nop 0
	v_mul_f32_e32 v5, 0x5f7ffffc, v5
	v_mul_f32_e32 v8, 0x2f800000, v5
	v_trunc_f32_e32 v8, v8
	v_fmac_f32_e32 v5, 0xcf800000, v8
	v_cvt_u32_f32_e32 v12, v8
	v_cvt_u32_f32_e32 v5, v5
	v_mul_lo_u32 v8, s2, v12
	v_mul_hi_u32 v10, s2, v5
	v_mul_lo_u32 v9, s3, v5
	v_add_u32_e32 v10, v10, v8
	v_mul_lo_u32 v13, s2, v5
	v_add_u32_e32 v14, v10, v9
	v_mul_hi_u32 v8, v5, v13
	v_mul_hi_u32 v11, v5, v14
	v_mul_lo_u32 v10, v5, v14
	v_mov_b32_e32 v9, v4
	v_lshl_add_u64 v[8:9], v[8:9], 0, v[10:11]
	v_mul_hi_u32 v11, v12, v13
	v_mul_lo_u32 v13, v12, v13
	v_add_co_u32_e32 v8, vcc, v8, v13
	v_mul_hi_u32 v10, v12, v14
	s_nop 0
	v_addc_co_u32_e32 v8, vcc, v9, v11, vcc
	v_mov_b32_e32 v9, v4
	s_nop 0
	v_addc_co_u32_e32 v11, vcc, 0, v10, vcc
	v_mul_lo_u32 v10, v12, v14
	v_lshl_add_u64 v[8:9], v[8:9], 0, v[10:11]
	v_add_co_u32_e32 v5, vcc, v5, v8
	v_mul_lo_u32 v10, s2, v5
	s_nop 0
	v_addc_co_u32_e32 v12, vcc, v12, v9, vcc
	v_mul_lo_u32 v8, s2, v12
	v_mul_hi_u32 v9, s2, v5
	v_add_u32_e32 v8, v9, v8
	v_mul_lo_u32 v9, s3, v5
	v_add_u32_e32 v13, v8, v9
	v_mul_hi_u32 v15, v12, v10
	v_mul_lo_u32 v18, v12, v10
	v_mul_hi_u32 v9, v5, v13
	v_mul_lo_u32 v8, v5, v13
	v_mul_hi_u32 v10, v5, v10
	v_mov_b32_e32 v11, v4
	v_lshl_add_u64 v[8:9], v[10:11], 0, v[8:9]
	v_add_co_u32_e32 v8, vcc, v8, v18
	v_mul_hi_u32 v14, v12, v13
	s_nop 0
	v_addc_co_u32_e32 v8, vcc, v9, v15, vcc
	v_mul_lo_u32 v10, v12, v13
	s_nop 0
	v_addc_co_u32_e32 v11, vcc, 0, v14, vcc
	v_mov_b32_e32 v9, v4
	v_lshl_add_u64 v[8:9], v[8:9], 0, v[10:11]
	v_add_co_u32_e32 v5, vcc, v5, v8
	v_mul_hi_u32 v10, v6, v5
	s_nop 0
	v_addc_co_u32_e32 v12, vcc, v12, v9, vcc
	v_mad_u64_u32 v[8:9], s[2:3], v6, v12, 0
	v_mov_b32_e32 v11, v4
	v_lshl_add_u64 v[8:9], v[10:11], 0, v[8:9]
	v_mad_u64_u32 v[10:11], s[2:3], v7, v12, 0
	v_mad_u64_u32 v[12:13], s[2:3], v7, v5, 0
	v_add_co_u32_e32 v5, vcc, v8, v12
	s_nop 1
	v_addc_co_u32_e32 v8, vcc, v9, v13, vcc
	v_mov_b32_e32 v9, v4
	s_nop 0
	v_addc_co_u32_e32 v11, vcc, 0, v11, vcc
	v_lshl_add_u64 v[8:9], v[8:9], 0, v[10:11]
	v_mul_lo_u32 v5, s25, v8
	v_mul_lo_u32 v12, s24, v9
	v_mad_u64_u32 v[10:11], s[2:3], s24, v8, 0
	v_add3_u32 v5, v11, v12, v5
	v_sub_u32_e32 v11, v7, v5
	v_mov_b32_e32 v12, s25
	v_sub_co_u32_e32 v14, vcc, v6, v10
	s_nop 1
	v_subb_co_u32_e64 v10, s[2:3], v11, v12, vcc
	v_subrev_co_u32_e64 v11, s[2:3], s24, v14
	v_subb_co_u32_e32 v5, vcc, v7, v5, vcc
	s_nop 0
	v_subbrev_co_u32_e64 v10, s[2:3], 0, v10, s[2:3]
	v_cmp_le_u32_e64 s[2:3], s25, v10
	v_cmp_le_u32_e32 vcc, s25, v5
	s_nop 0
	v_cndmask_b32_e64 v12, 0, -1, s[2:3]
	v_cmp_le_u32_e64 s[2:3], s24, v11
	s_nop 1
	v_cndmask_b32_e64 v11, 0, -1, s[2:3]
	v_cmp_eq_u32_e64 s[2:3], s25, v10
	s_nop 1
	v_cndmask_b32_e64 v15, v12, v11, s[2:3]
	v_lshl_add_u64 v[10:11], v[8:9], 0, 2
	v_lshl_add_u64 v[12:13], v[8:9], 0, 1
	v_cmp_ne_u32_e64 s[2:3], 0, v15
	s_nop 1
	v_cndmask_b32_e64 v11, v13, v11, s[2:3]
	v_cndmask_b32_e64 v13, 0, -1, vcc
	v_cmp_le_u32_e32 vcc, s24, v14
	s_nop 1
	v_cndmask_b32_e64 v14, 0, -1, vcc
	v_cmp_eq_u32_e32 vcc, s25, v5
	s_nop 1
	v_cndmask_b32_e32 v5, v13, v14, vcc
	v_cmp_ne_u32_e32 vcc, 0, v5
	v_cndmask_b32_e64 v5, v12, v10, s[2:3]
	s_nop 0
	v_cndmask_b32_e32 v19, v9, v11, vcc
	v_cndmask_b32_e32 v18, v8, v5, vcc
.LBB0_4:                                ;   in Loop: Header=BB0_2 Depth=1
	s_andn2_saveexec_b64 s[2:3], s[26:27]
	s_cbranch_execz .LBB0_6
; %bb.5:                                ;   in Loop: Header=BB0_2 Depth=1
	v_cvt_f32_u32_e32 v5, s24
	s_sub_i32 s26, 0, s24
	v_mov_b32_e32 v19, v4
	v_rcp_iflag_f32_e32 v5, v5
	s_nop 0
	v_mul_f32_e32 v5, 0x4f7ffffe, v5
	v_cvt_u32_f32_e32 v5, v5
	v_mul_lo_u32 v8, s26, v5
	v_mul_hi_u32 v8, v5, v8
	v_add_u32_e32 v5, v5, v8
	v_mul_hi_u32 v5, v6, v5
	v_mul_lo_u32 v8, v5, s24
	v_sub_u32_e32 v8, v6, v8
	v_add_u32_e32 v9, 1, v5
	v_subrev_u32_e32 v10, s24, v8
	v_cmp_le_u32_e32 vcc, s24, v8
	s_nop 1
	v_cndmask_b32_e32 v8, v8, v10, vcc
	v_cndmask_b32_e32 v5, v5, v9, vcc
	v_add_u32_e32 v9, 1, v5
	v_cmp_le_u32_e32 vcc, s24, v8
	s_nop 1
	v_cndmask_b32_e32 v18, v5, v9, vcc
.LBB0_6:                                ;   in Loop: Header=BB0_2 Depth=1
	s_or_b64 exec, exec, s[2:3]
	v_mad_u64_u32 v[8:9], s[2:3], v18, s24, 0
	s_load_dwordx2 s[2:3], s[18:19], 0x0
	v_mul_lo_u32 v5, v19, s24
	v_mul_lo_u32 v10, v18, s25
	s_load_dwordx2 s[24:25], s[16:17], 0x0
	s_add_u32 s22, s22, 1
	v_add3_u32 v5, v9, v10, v5
	v_sub_co_u32_e32 v6, vcc, v6, v8
	s_addc_u32 s23, s23, 0
	s_nop 0
	v_subb_co_u32_e32 v5, vcc, v7, v5, vcc
	s_add_u32 s16, s16, 8
	s_waitcnt lgkmcnt(0)
	v_mul_lo_u32 v7, s2, v5
	v_mul_lo_u32 v8, s3, v6
	v_mad_u64_u32 v[2:3], s[2:3], s2, v6, v[2:3]
	s_addc_u32 s17, s17, 0
	v_add3_u32 v3, v8, v3, v7
	v_mul_lo_u32 v5, s24, v5
	v_mul_lo_u32 v7, s25, v6
	v_mad_u64_u32 v[16:17], s[2:3], s24, v6, v[16:17]
	s_add_u32 s18, s18, 8
	v_add3_u32 v17, v7, v17, v5
	s_addc_u32 s19, s19, 0
	v_mov_b64_e32 v[6:7], s[10:11]
	s_add_u32 s20, s20, 8
	v_cmp_ge_u64_e32 vcc, s[22:23], v[6:7]
	s_addc_u32 s21, s21, 0
	s_cbranch_vccnz .LBB0_9
; %bb.7:                                ;   in Loop: Header=BB0_2 Depth=1
	v_mov_b64_e32 v[6:7], v[18:19]
	s_branch .LBB0_2
.LBB0_8:
	v_mov_b64_e32 v[16:17], v[2:3]
	v_mov_b64_e32 v[18:19], v[6:7]
.LBB0_9:
	s_load_dwordx2 s[2:3], s[0:1], 0x28
	s_lshl_b64 s[16:17], s[10:11], 3
	s_add_u32 s14, s14, s16
	v_and_b32_e32 v1, 1, v1
	s_addc_u32 s15, s15, s17
	v_cmp_eq_u32_e32 vcc, 1, v1
	v_mov_b32_e32 v1, 0x3c9
	s_waitcnt lgkmcnt(0)
	v_cmp_gt_u64_e64 s[0:1], s[2:3], v[18:19]
	v_cmp_le_u64_e64 s[2:3], s[2:3], v[18:19]
                                        ; implicit-def: $vgpr20
	s_and_saveexec_b64 s[10:11], s[2:3]
	s_xor_b64 s[2:3], exec, s[10:11]
; %bb.10:
	s_mov_b32 s10, 0x2e8ba2f
	v_mul_hi_u32 v2, v0, s10
	v_mul_u32_u24_e32 v2, 0x58, v2
	v_sub_u32_e32 v20, v0, v2
                                        ; implicit-def: $vgpr0
                                        ; implicit-def: $vgpr2_vgpr3
; %bb.11:
	s_or_saveexec_b64 s[10:11], s[2:3]
	s_load_dwordx2 s[2:3], s[14:15], 0x0
	v_cndmask_b32_e32 v4, 0, v1, vcc
	v_lshlrev_b32_e32 v32, 3, v4
	s_xor_b64 exec, exec, s[10:11]
	s_cbranch_execz .LBB0_15
; %bb.12:
	s_add_u32 s12, s12, s16
	s_addc_u32 s13, s13, s17
	s_load_dwordx2 s[12:13], s[12:13], 0x0
	s_mov_b32 s14, 0x2e8ba2f
	s_waitcnt lgkmcnt(0)
	v_mul_lo_u32 v1, s13, v18
	v_mul_lo_u32 v5, s12, v19
	v_mad_u64_u32 v[6:7], s[12:13], s12, v18, 0
	v_add3_u32 v7, v7, v5, v1
	v_mul_hi_u32 v1, v0, s14
	v_mul_u32_u24_e32 v1, 0x58, v1
	v_sub_u32_e32 v20, v0, v1
	v_lshl_add_u64 v[0:1], v[6:7], 3, s[4:5]
	v_lshl_add_u64 v[0:1], v[2:3], 3, v[0:1]
	v_lshlrev_b32_e32 v2, 3, v20
	v_mov_b32_e32 v3, 0
	v_lshl_add_u64 v[6:7], v[0:1], 0, v[2:3]
	s_movk_i32 s4, 0x1000
	v_add_co_u32_e32 v22, vcc, s4, v6
	global_load_dwordx2 v[8:9], v[6:7], off
	global_load_dwordx2 v[10:11], v[6:7], off offset:704
	global_load_dwordx2 v[12:13], v[6:7], off offset:1408
	;; [unrolled: 1-line block ×3, first 2 shown]
	v_addc_co_u32_e32 v23, vcc, 0, v7, vcc
	global_load_dwordx2 v[24:25], v[6:7], off offset:2816
	global_load_dwordx2 v[26:27], v[6:7], off offset:3520
	;; [unrolled: 1-line block ×7, first 2 shown]
	s_movk_i32 s4, 0x57
	v_add3_u32 v2, 0, v32, v2
	v_cmp_eq_u32_e32 vcc, s4, v20
	v_add_u32_e32 v3, 0x400, v2
	v_add_u32_e32 v5, 0x800, v2
	;; [unrolled: 1-line block ×4, first 2 shown]
	s_waitcnt vmcnt(9)
	ds_write2_b64 v2, v[8:9], v[10:11] offset1:88
	s_waitcnt vmcnt(7)
	ds_write2_b64 v3, v[12:13], v[14:15] offset0:48 offset1:136
	s_waitcnt vmcnt(5)
	ds_write2_b64 v5, v[24:25], v[26:27] offset0:96 offset1:184
	;; [unrolled: 2-line block ×4, first 2 shown]
	s_waitcnt vmcnt(0)
	ds_write_b64 v2, v[38:39] offset:7040
	s_and_saveexec_b64 s[4:5], vcc
	s_cbranch_execz .LBB0_14
; %bb.13:
	v_add_co_u32_e32 v0, vcc, 0x1000, v0
	v_mov_b32_e32 v20, 0x57
	s_nop 0
	v_addc_co_u32_e32 v1, vcc, 0, v1, vcc
	global_load_dwordx2 v[0:1], v[0:1], off offset:3648
	s_waitcnt vmcnt(0)
	ds_write_b64 v2, v[0:1] offset:7048
.LBB0_14:
	s_or_b64 exec, exec, s[4:5]
.LBB0_15:
	s_or_b64 exec, exec, s[10:11]
	v_lshl_add_u32 v40, v4, 3, 0
	v_lshlrev_b32_e32 v4, 3, v20
	v_add_u32_e32 v34, v40, v4
	s_waitcnt lgkmcnt(0)
	s_barrier
	v_sub_u32_e32 v5, v40, v4
	ds_read_b32 v1, v34
	ds_read_b32 v2, v5 offset:7744
	s_add_u32 s4, s8, 0x1e30
	s_addc_u32 s5, s9, 0
	v_cmp_ne_u32_e32 vcc, 0, v20
	s_waitcnt lgkmcnt(0)
	v_add_f32_e32 v0, v2, v1
	v_sub_f32_e32 v1, v1, v2
                                        ; implicit-def: $vgpr2_vgpr3
	s_and_saveexec_b64 s[10:11], vcc
	s_xor_b64 s[10:11], exec, s[10:11]
	s_cbranch_execz .LBB0_17
; %bb.16:
	v_mov_b32_e32 v21, 0
	v_lshl_add_u64 v[2:3], v[20:21], 3, s[4:5]
	global_load_dwordx2 v[6:7], v[2:3], off
	ds_read_b32 v11, v5 offset:7748
	ds_read_b32 v12, v34 offset:4
	v_mov_b32_e32 v8, v1
	v_mov_b32_e32 v10, v0
	;; [unrolled: 1-line block ×3, first 2 shown]
	v_mov_b64_e32 v[2:3], v[20:21]
	s_waitcnt lgkmcnt(0)
	v_add_f32_e32 v9, v11, v12
	v_sub_f32_e32 v11, v12, v11
	v_mov_b32_e32 v12, v9
	s_waitcnt vmcnt(0)
	v_pk_mul_f32 v[14:15], v[8:9], v[6:7] op_sel:[0,1]
	v_pk_fma_f32 v[8:9], v[8:9], v[6:7], v[10:11] op_sel:[0,1,0]
	v_mov_b32_e32 v1, v15
	v_mov_b32_e32 v15, v11
	v_pk_fma_f32 v[22:23], v[6:7], v[12:13], v[8:9] neg_lo:[1,0,0] neg_hi:[1,0,0]
	v_pk_fma_f32 v[8:9], v[6:7], v[12:13], v[8:9] op_sel_hi:[0,1,1]
	v_pk_add_f32 v[0:1], v[0:1], v[14:15] neg_lo:[0,1] neg_hi:[0,1]
	v_mov_b32_e32 v23, v9
	v_pk_fma_f32 v[0:1], v[6:7], v[12:13], v[0:1] op_sel_hi:[0,1,1]
	ds_write_b64 v5, v[0:1] offset:7744
	v_mov_b64_e32 v[0:1], v[22:23]
.LBB0_17:
	s_andn2_saveexec_b64 s[10:11], s[10:11]
	s_cbranch_execz .LBB0_19
; %bb.18:
	ds_read_b64 v[2:3], v40 offset:3872
	s_mov_b32 s12, 2.0
	s_mov_b32 s13, -2.0
	s_waitcnt lgkmcnt(0)
	v_pk_mul_f32 v[2:3], v[2:3], s[12:13]
	ds_write_b64 v40, v[2:3] offset:3872
	v_mov_b64_e32 v[2:3], 0
.LBB0_19:
	s_or_b64 exec, exec, s[10:11]
	v_lshl_add_u64 v[2:3], v[2:3], 3, s[4:5]
	global_load_dwordx2 v[6:7], v[2:3], off offset:704
	global_load_dwordx2 v[8:9], v[2:3], off offset:1408
	;; [unrolled: 1-line block ×4, first 2 shown]
	ds_write_b64 v34, v[0:1]
	ds_read_b64 v[0:1], v5 offset:7040
	ds_read_b64 v[14:15], v34 offset:704
	v_cmp_gt_u32_e32 vcc, 44, v20
	s_waitcnt lgkmcnt(0)
	v_pk_add_f32 v[22:23], v[14:15], v[0:1]
	v_pk_add_f32 v[0:1], v[14:15], v[0:1] neg_lo:[0,1] neg_hi:[0,1]
	v_mov_b32_e32 v14, v23
	v_mov_b32_e32 v15, v0
	v_mov_b32_e32 v23, v1
	s_waitcnt vmcnt(3)
	v_pk_mul_f32 v[24:25], v[14:15], v[6:7] op_sel:[0,1]
	s_nop 0
	v_pk_add_f32 v[26:27], v[22:23], v[24:25] op_sel:[0,1] op_sel_hi:[1,0]
	v_mov_b32_e32 v23, v24
	v_mov_b32_e32 v0, v25
	v_pk_fma_f32 v[24:25], v[6:7], v[14:15], v[26:27] neg_lo:[1,0,0] neg_hi:[1,0,0]
	v_pk_fma_f32 v[26:27], v[6:7], v[14:15], v[26:27] op_sel_hi:[0,1,1]
	v_pk_add_f32 v[0:1], v[22:23], v[0:1] neg_lo:[0,1] neg_hi:[0,1]
	v_mov_b32_e32 v25, v27
	v_pk_fma_f32 v[0:1], v[6:7], v[14:15], v[0:1] op_sel_hi:[0,1,1]
	ds_write_b64 v34, v[24:25] offset:704
	ds_write_b64 v5, v[0:1] offset:7040
	ds_read_b64 v[0:1], v5 offset:6336
	ds_read_b64 v[6:7], v34 offset:1408
	s_waitcnt lgkmcnt(0)
	v_pk_add_f32 v[14:15], v[6:7], v[0:1]
	v_pk_add_f32 v[0:1], v[6:7], v[0:1] neg_lo:[0,1] neg_hi:[0,1]
	v_mov_b32_e32 v6, v15
	v_mov_b32_e32 v7, v0
	v_mov_b32_e32 v15, v1
	s_waitcnt vmcnt(2)
	v_pk_mul_f32 v[22:23], v[6:7], v[8:9] op_sel:[0,1]
	s_nop 0
	v_pk_add_f32 v[24:25], v[14:15], v[22:23] op_sel:[0,1] op_sel_hi:[1,0]
	v_mov_b32_e32 v15, v22
	v_mov_b32_e32 v0, v23
	v_pk_fma_f32 v[22:23], v[8:9], v[6:7], v[24:25] neg_lo:[1,0,0] neg_hi:[1,0,0]
	v_pk_fma_f32 v[24:25], v[8:9], v[6:7], v[24:25] op_sel_hi:[0,1,1]
	v_pk_add_f32 v[0:1], v[14:15], v[0:1] neg_lo:[0,1] neg_hi:[0,1]
	v_mov_b32_e32 v23, v25
	v_pk_fma_f32 v[0:1], v[8:9], v[6:7], v[0:1] op_sel_hi:[0,1,1]
	ds_write_b64 v34, v[22:23] offset:1408
	ds_write_b64 v5, v[0:1] offset:6336
	ds_read_b64 v[0:1], v5 offset:5632
	ds_read_b64 v[6:7], v34 offset:2112
	;; [unrolled: 21-line block ×3, first 2 shown]
	s_waitcnt lgkmcnt(0)
	v_pk_add_f32 v[8:9], v[6:7], v[0:1]
	v_pk_add_f32 v[0:1], v[6:7], v[0:1] neg_lo:[0,1] neg_hi:[0,1]
	v_mov_b32_e32 v6, v9
	v_mov_b32_e32 v7, v0
	;; [unrolled: 1-line block ×3, first 2 shown]
	s_waitcnt vmcnt(0)
	v_pk_mul_f32 v[10:11], v[6:7], v[12:13] op_sel:[0,1]
	s_nop 0
	v_pk_add_f32 v[14:15], v[8:9], v[10:11] op_sel:[0,1] op_sel_hi:[1,0]
	v_mov_b32_e32 v9, v10
	v_mov_b32_e32 v0, v11
	v_pk_fma_f32 v[10:11], v[12:13], v[6:7], v[14:15] neg_lo:[1,0,0] neg_hi:[1,0,0]
	v_pk_fma_f32 v[14:15], v[12:13], v[6:7], v[14:15] op_sel_hi:[0,1,1]
	v_pk_add_f32 v[0:1], v[8:9], v[0:1] neg_lo:[0,1] neg_hi:[0,1]
	v_mov_b32_e32 v11, v15
	v_pk_fma_f32 v[0:1], v[12:13], v[6:7], v[0:1] op_sel_hi:[0,1,1]
	ds_write_b64 v34, v[10:11] offset:2816
	ds_write_b64 v5, v[0:1] offset:4928
	s_and_saveexec_b64 s[4:5], vcc
	s_cbranch_execz .LBB0_21
; %bb.20:
	global_load_dwordx2 v[0:1], v[2:3], off offset:3520
	ds_read_b64 v[2:3], v5 offset:4224
	ds_read_b64 v[6:7], v34 offset:3520
	s_waitcnt lgkmcnt(0)
	v_pk_add_f32 v[8:9], v[6:7], v[2:3]
	v_pk_add_f32 v[2:3], v[6:7], v[2:3] neg_lo:[0,1] neg_hi:[0,1]
	v_mov_b32_e32 v6, v9
	v_mov_b32_e32 v7, v2
	;; [unrolled: 1-line block ×3, first 2 shown]
	s_waitcnt vmcnt(0)
	v_pk_mul_f32 v[10:11], v[6:7], v[0:1] op_sel:[0,1]
	s_nop 0
	v_pk_add_f32 v[12:13], v[8:9], v[10:11] op_sel:[0,1] op_sel_hi:[1,0]
	v_mov_b32_e32 v9, v10
	v_mov_b32_e32 v2, v11
	v_pk_fma_f32 v[10:11], v[0:1], v[6:7], v[12:13] neg_lo:[1,0,0] neg_hi:[1,0,0]
	v_pk_fma_f32 v[12:13], v[0:1], v[6:7], v[12:13] op_sel_hi:[0,1,1]
	v_pk_add_f32 v[2:3], v[8:9], v[2:3] neg_lo:[0,1] neg_hi:[0,1]
	v_mov_b32_e32 v11, v13
	v_pk_fma_f32 v[0:1], v[0:1], v[6:7], v[2:3] op_sel_hi:[0,1,1]
	ds_write_b64 v34, v[10:11] offset:3520
	ds_write_b64 v5, v[0:1] offset:4224
.LBB0_21:
	s_or_b64 exec, exec, s[4:5]
	v_add3_u32 v21, 0, v4, v32
	v_add_u32_e32 v5, 0x800, v21
	s_waitcnt lgkmcnt(0)
	s_barrier
	s_barrier
	ds_read2_b64 v[0:3], v5 offset0:184 offset1:228
	ds_read_b64 v[6:7], v21 offset:7392
	ds_read_b64 v[14:15], v34
	v_add_u32_e32 v31, 0x58, v20
	v_add_u32_e32 v33, 0xb0, v20
	;; [unrolled: 1-line block ×3, first 2 shown]
	s_waitcnt lgkmcnt(1)
	v_pk_add_f32 v[24:25], v[0:1], v[6:7] neg_lo:[0,1] neg_hi:[0,1]
	v_add_u32_e32 v4, 0x1000, v21
	v_pk_fma_f32 v[22:23], v[0:1], 2.0, v[24:25] op_sel_hi:[1,0,1] neg_lo:[0,0,1] neg_hi:[0,0,1]
	v_lshlrev_b32_e32 v0, 4, v31
	v_add3_u32 v41, 0, v0, v32
	v_lshlrev_b32_e32 v0, 4, v33
	v_add_u32_e32 v26, 0x1400, v21
	ds_read2_b64 v[6:9], v21 offset0:88 offset1:176
	ds_read2_b64 v[10:13], v4 offset0:60 offset1:148
	s_waitcnt lgkmcnt(2)
	v_pk_add_f32 v[36:37], v[14:15], v[2:3] neg_lo:[0,1] neg_hi:[0,1]
	v_add3_u32 v42, 0, v0, v32
	ds_read2_b64 v[0:3], v5 offset0:8 offset1:96
	ds_read2_b64 v[26:29], v26 offset0:108 offset1:196
	v_add_u32_e32 v35, 0x108, v20
	v_add_u32_e32 v38, 0x160, v20
	;; [unrolled: 1-line block ×3, first 2 shown]
	v_pk_fma_f32 v[14:15], v[14:15], 2.0, v[36:37] op_sel_hi:[1,0,1] neg_lo:[0,0,1] neg_hi:[0,0,1]
	s_waitcnt lgkmcnt(2)
	v_pk_add_f32 v[10:11], v[6:7], v[10:11] neg_lo:[0,1] neg_hi:[0,1]
	v_pk_add_f32 v[12:13], v[8:9], v[12:13] neg_lo:[0,1] neg_hi:[0,1]
	v_lshlrev_b32_e32 v43, 4, v35
	s_waitcnt lgkmcnt(0)
	v_pk_add_f32 v[26:27], v[0:1], v[26:27] neg_lo:[0,1] neg_hi:[0,1]
	v_lshlrev_b32_e32 v44, 4, v38
	v_pk_add_f32 v[28:29], v[2:3], v[28:29] neg_lo:[0,1] neg_hi:[0,1]
	v_pk_fma_f32 v[6:7], v[6:7], 2.0, v[10:11] op_sel_hi:[1,0,1] neg_lo:[0,0,1] neg_hi:[0,0,1]
	v_pk_fma_f32 v[8:9], v[8:9], 2.0, v[12:13] op_sel_hi:[1,0,1] neg_lo:[0,0,1] neg_hi:[0,0,1]
	v_add3_u32 v43, 0, v43, v32
	v_pk_fma_f32 v[0:1], v[0:1], 2.0, v[26:27] op_sel_hi:[1,0,1] neg_lo:[0,0,1] neg_hi:[0,0,1]
	v_add3_u32 v44, 0, v44, v32
	v_pk_fma_f32 v[2:3], v[2:3], 2.0, v[28:29] op_sel_hi:[1,0,1] neg_lo:[0,0,1] neg_hi:[0,0,1]
	s_barrier
	ds_write2_b64 v39, v[14:15], v[36:37] offset1:1
	ds_write2_b64 v41, v[6:7], v[10:11] offset1:1
	;; [unrolled: 1-line block ×5, first 2 shown]
	s_and_saveexec_b64 s[4:5], vcc
	s_cbranch_execz .LBB0_23
; %bb.22:
	v_lshlrev_b32_e32 v0, 4, v30
	v_add3_u32 v0, 0, v0, v32
	ds_write2_b64 v0, v[22:23], v[24:25] offset1:1
.LBB0_23:
	s_or_b64 exec, exec, s[4:5]
	v_add_u32_e32 v0, 0xc00, v21
	s_waitcnt lgkmcnt(0)
	s_barrier
	ds_read2_b64 v[8:11], v0 offset0:100 offset1:188
	ds_read2_b64 v[0:3], v21 offset0:88 offset1:176
	;; [unrolled: 1-line block ×4, first 2 shown]
	ds_read_b64 v[26:27], v34
	ds_read_b64 v[28:29], v21 offset:6688
	v_lshlrev_b32_e32 v36, 1, v31
	v_lshlrev_b32_e32 v37, 1, v33
	;; [unrolled: 1-line block ×4, first 2 shown]
	s_and_saveexec_b64 s[4:5], vcc
	s_cbranch_execz .LBB0_25
; %bb.24:
	ds_read_b64 v[22:23], v21 offset:3520
	ds_read_b64 v[24:25], v21 offset:7392
.LBB0_25:
	s_or_b64 exec, exec, s[4:5]
	v_and_b32_e32 v31, 1, v20
	v_lshlrev_b32_e32 v38, 3, v31
	global_load_dwordx2 v[42:43], v38, s[8:9]
	s_movk_i32 s10, 0x3fc
	v_and_or_b32 v45, v37, s10, v31
	v_and_or_b32 v46, v35, s10, v31
	v_and_or_b32 v47, v33, s10, v31
	s_waitcnt lgkmcnt(0)
	v_mov_b32_e32 v44, v25
	v_lshlrev_b32_e32 v45, 3, v45
	v_lshlrev_b32_e32 v46, 3, v46
	;; [unrolled: 1-line block ×3, first 2 shown]
	v_add3_u32 v58, 0, v45, v32
	v_add3_u32 v59, 0, v46, v32
	;; [unrolled: 1-line block ×3, first 2 shown]
	v_lshlrev_b32_e32 v38, 1, v20
	s_movk_i32 s4, 0xfc
	s_movk_i32 s5, 0x1fc
	v_and_or_b32 v39, v38, s4, v31
	v_and_or_b32 v41, v36, s5, v31
	v_lshlrev_b32_e32 v39, 3, v39
	v_lshlrev_b32_e32 v41, 3, v41
	v_add3_u32 v39, 0, v39, v32
	s_barrier
	v_add3_u32 v41, 0, v41, v32
	s_waitcnt vmcnt(0)
	v_pk_mul_f32 v[44:45], v[44:45], v[42:43] op_sel_hi:[0,1]
	v_pk_mul_f32 v[46:47], v[42:43], v[8:9] op_sel:[0,1]
	v_pk_mul_f32 v[48:49], v[42:43], v[10:11] op_sel:[0,1]
	;; [unrolled: 1-line block ×5, first 2 shown]
	v_pk_fma_f32 v[56:57], v[24:25], v[42:43], v[44:45] op_sel:[0,0,1] op_sel_hi:[1,1,0] neg_lo:[0,0,1] neg_hi:[0,0,1]
	v_pk_fma_f32 v[24:25], v[24:25], v[42:43], v[44:45] op_sel:[0,0,1] op_sel_hi:[0,1,0]
	v_pk_fma_f32 v[44:45], v[42:43], v[8:9], v[46:47] op_sel:[0,0,1] op_sel_hi:[1,1,0] neg_lo:[0,0,1] neg_hi:[0,0,1]
	v_pk_fma_f32 v[8:9], v[42:43], v[8:9], v[46:47] op_sel:[0,0,1] op_sel_hi:[1,0,0]
	;; [unrolled: 2-line block ×6, first 2 shown]
	v_mov_b32_e32 v45, v9
	v_mov_b32_e32 v57, v25
	;; [unrolled: 1-line block ×6, first 2 shown]
	v_pk_add_f32 v[8:9], v[26:27], v[44:45] neg_lo:[0,1] neg_hi:[0,1]
	v_pk_add_f32 v[24:25], v[22:23], v[56:57] neg_lo:[0,1] neg_hi:[0,1]
	;; [unrolled: 1-line block ×6, first 2 shown]
	v_pk_fma_f32 v[26:27], v[26:27], 2.0, v[8:9] op_sel_hi:[1,0,1] neg_lo:[0,0,1] neg_hi:[0,0,1]
	v_pk_fma_f32 v[22:23], v[22:23], 2.0, v[24:25] op_sel_hi:[1,0,1] neg_lo:[0,0,1] neg_hi:[0,0,1]
	;; [unrolled: 1-line block ×6, first 2 shown]
	ds_write2_b64 v39, v[26:27], v[8:9] offset1:2
	ds_write2_b64 v41, v[0:1], v[10:11] offset1:2
	;; [unrolled: 1-line block ×5, first 2 shown]
	v_lshlrev_b32_e32 v39, 1, v30
	s_and_saveexec_b64 s[4:5], vcc
	s_cbranch_execz .LBB0_27
; %bb.26:
	v_and_or_b32 v0, v39, s10, v31
	v_lshlrev_b32_e32 v0, 3, v0
	v_add3_u32 v0, 0, v0, v32
	ds_write2_b64 v0, v[22:23], v[24:25] offset1:2
.LBB0_27:
	s_or_b64 exec, exec, s[4:5]
	v_add_u32_e32 v0, 0xc00, v21
	v_add_u32_e32 v4, 0x1000, v21
	s_waitcnt lgkmcnt(0)
	s_barrier
	ds_read2_b64 v[8:11], v0 offset0:100 offset1:188
	ds_read2_b64 v[0:3], v21 offset0:88 offset1:176
	ds_read2_b64 v[12:15], v4 offset0:148 offset1:236
	v_add_u32_e32 v4, 0x800, v21
	ds_read2_b64 v[4:7], v4 offset0:8 offset1:96
	ds_read_b64 v[26:27], v34
	ds_read_b64 v[30:31], v21 offset:6688
	s_and_saveexec_b64 s[4:5], vcc
	s_cbranch_execz .LBB0_29
; %bb.28:
	ds_read_b64 v[22:23], v21 offset:3520
	ds_read_b64 v[24:25], v21 offset:7392
.LBB0_29:
	s_or_b64 exec, exec, s[4:5]
	v_and_b32_e32 v41, 3, v20
	v_lshlrev_b32_e32 v28, 3, v41
	global_load_dwordx2 v[28:29], v28, s[8:9] offset:16
	s_movk_i32 s5, 0x1f8
	s_movk_i32 s10, 0x3f8
	v_and_or_b32 v36, v36, s5, v41
	v_and_or_b32 v37, v37, s10, v41
	v_lshlrev_b32_e32 v36, 3, v36
	v_lshlrev_b32_e32 v37, 3, v37
	v_add3_u32 v52, 0, v36, v32
	v_add3_u32 v53, 0, v37, v32
	s_movk_i32 s4, 0xf8
	v_and_or_b32 v38, v38, s4, v41
	v_and_or_b32 v35, v35, s10, v41
	v_and_or_b32 v33, v33, s10, v41
	v_lshlrev_b32_e32 v38, 3, v38
	v_lshlrev_b32_e32 v35, 3, v35
	;; [unrolled: 1-line block ×3, first 2 shown]
	v_add3_u32 v38, 0, v38, v32
	s_waitcnt lgkmcnt(0)
	s_barrier
	v_add3_u32 v35, 0, v35, v32
	v_add3_u32 v33, 0, v33, v32
	s_waitcnt vmcnt(0)
	v_pk_mul_f32 v[36:37], v[28:29], v[8:9] op_sel:[0,1]
	v_pk_mul_f32 v[42:43], v[28:29], v[10:11] op_sel:[0,1]
	;; [unrolled: 1-line block ×5, first 2 shown]
	v_pk_fma_f32 v[50:51], v[28:29], v[8:9], v[36:37] op_sel:[0,0,1] op_sel_hi:[1,1,0] neg_lo:[0,0,1] neg_hi:[0,0,1]
	v_pk_fma_f32 v[8:9], v[28:29], v[8:9], v[36:37] op_sel:[0,0,1] op_sel_hi:[1,0,0]
	v_pk_fma_f32 v[36:37], v[28:29], v[10:11], v[42:43] op_sel:[0,0,1] op_sel_hi:[1,1,0] neg_lo:[0,0,1] neg_hi:[0,0,1]
	v_pk_fma_f32 v[10:11], v[28:29], v[10:11], v[42:43] op_sel:[0,0,1] op_sel_hi:[1,0,0]
	;; [unrolled: 2-line block ×5, first 2 shown]
	v_mov_b32_e32 v51, v9
	v_mov_b32_e32 v37, v11
	v_mov_b32_e32 v43, v13
	v_mov_b32_e32 v45, v15
	v_mov_b32_e32 v47, v31
	v_pk_add_f32 v[8:9], v[26:27], v[50:51] neg_lo:[0,1] neg_hi:[0,1]
	v_pk_add_f32 v[10:11], v[0:1], v[36:37] neg_lo:[0,1] neg_hi:[0,1]
	;; [unrolled: 1-line block ×5, first 2 shown]
	v_pk_fma_f32 v[26:27], v[26:27], 2.0, v[8:9] op_sel_hi:[1,0,1] neg_lo:[0,0,1] neg_hi:[0,0,1]
	v_pk_fma_f32 v[0:1], v[0:1], 2.0, v[10:11] op_sel_hi:[1,0,1] neg_lo:[0,0,1] neg_hi:[0,0,1]
	;; [unrolled: 1-line block ×5, first 2 shown]
	ds_write2_b64 v38, v[26:27], v[8:9] offset1:4
	ds_write2_b64 v52, v[0:1], v[10:11] offset1:4
	;; [unrolled: 1-line block ×5, first 2 shown]
	s_and_saveexec_b64 s[4:5], vcc
	s_cbranch_execz .LBB0_31
; %bb.30:
	v_mov_b32_e32 v0, v25
	v_and_or_b32 v2, v39, s10, v41
	v_pk_mul_f32 v[0:1], v[0:1], v[28:29] op_sel_hi:[0,1]
	v_lshlrev_b32_e32 v2, 3, v2
	v_add3_u32 v4, 0, v2, v32
	v_pk_fma_f32 v[2:3], v[24:25], v[28:29], v[0:1] op_sel:[0,0,1] op_sel_hi:[1,1,0] neg_lo:[0,0,1] neg_hi:[0,0,1]
	v_pk_fma_f32 v[0:1], v[24:25], v[28:29], v[0:1] op_sel:[0,0,1] op_sel_hi:[0,1,0]
	v_mov_b32_e32 v3, v1
	v_pk_add_f32 v[0:1], v[22:23], v[2:3] neg_lo:[0,1] neg_hi:[0,1]
	s_nop 0
	v_pk_fma_f32 v[2:3], v[22:23], 2.0, v[0:1] op_sel_hi:[1,0,1] neg_lo:[0,0,1] neg_hi:[0,0,1]
	ds_write2_b64 v4, v[2:3], v[0:1] offset1:4
.LBB0_31:
	s_or_b64 exec, exec, s[4:5]
	v_and_b32_e32 v33, 7, v20
	v_mul_u32_u24_e32 v0, 10, v33
	v_lshlrev_b32_e32 v0, 3, v0
	s_waitcnt lgkmcnt(0)
	s_barrier
	global_load_dwordx4 v[2:5], v0, s[8:9] offset:64
	global_load_dwordx4 v[6:9], v0, s[8:9] offset:48
	;; [unrolled: 1-line block ×5, first 2 shown]
	ds_read2_b64 v[36:39], v21 offset0:88 offset1:176
	v_add_u32_e32 v43, 0x800, v21
	v_add_u32_e32 v35, 0xc00, v21
	ds_read_b64 v[0:1], v34
	ds_read_b64 v[14:15], v21 offset:7040
	ds_read2_b64 v[44:47], v43 offset0:8 offset1:96
	ds_read2_b32 v[30:31], v35 offset0:112 offset1:113
	v_lshrrev_b32_e32 v48, 3, v20
	v_add_u32_e32 v42, 0x1000, v21
	v_add_u32_e32 v41, 0x1400, v21
	v_mul_u32_u24_e32 v56, 0x58, v48
	ds_read2_b64 v[48:51], v42 offset0:16 offset1:104
	ds_read2_b64 v[52:55], v41 offset0:64 offset1:152
	v_or_b32_e32 v33, v56, v33
	v_lshlrev_b32_e32 v33, 3, v33
	v_add3_u32 v130, 0, v33, v32
	s_waitcnt lgkmcnt(2)
	v_mov_b32_e32 v32, v31
	s_mov_b32 s4, 0xbf0a6770
	s_mov_b32 s5, 0x3f575c64
	;; [unrolled: 1-line block ×20, first 2 shown]
	s_waitcnt lgkmcnt(0)
	s_barrier
	s_mov_b32 s24, 0x3e903f40
	s_mov_b32 s44, s17
	;; [unrolled: 1-line block ×16, first 2 shown]
	s_waitcnt vmcnt(4)
	v_pk_mul_f32 v[56:57], v[2:3], v[44:45] op_sel:[0,1]
	s_waitcnt vmcnt(3)
	v_mul_f32_e32 v31, v7, v37
	v_mul_f32_e32 v33, v7, v36
	v_mov_b32_e32 v60, v9
	v_mov_b32_e32 v61, v8
	v_pk_mul_f32 v[58:59], v[4:5], v[46:47] op_sel:[0,1]
	s_waitcnt vmcnt(2)
	v_pk_mul_f32 v[62:63], v[32:33], v[10:11] op_sel_hi:[0,1]
	s_waitcnt vmcnt(1)
	v_pk_mul_f32 v[66:67], v[50:51], v[22:23] op_sel:[0,1]
	v_fma_f32 v32, v6, v36, -v31
	v_fmac_f32_e32 v33, v6, v37
	v_pk_mul_f32 v[6:7], v[60:61], v[38:39] op_sel:[0,1]
	v_pk_fma_f32 v[74:75], v[2:3], v[44:45], v[56:57] op_sel:[0,0,1] op_sel_hi:[1,1,0] neg_lo:[0,0,1] neg_hi:[0,0,1]
	v_pk_fma_f32 v[2:3], v[2:3], v[44:45], v[56:57] op_sel:[0,0,1] op_sel_hi:[1,0,0]
	v_pk_fma_f32 v[44:45], v[4:5], v[46:47], v[58:59] op_sel:[0,0,1] op_sel_hi:[1,1,0] neg_lo:[0,0,1] neg_hi:[0,0,1]
	v_pk_fma_f32 v[4:5], v[4:5], v[46:47], v[58:59] op_sel:[0,0,1] op_sel_hi:[1,0,0]
	;; [unrolled: 2-line block ×3, first 2 shown]
	v_pk_fma_f32 v[58:59], v[8:9], v[38:39], v[6:7] neg_lo:[0,0,1] neg_hi:[0,0,1]
	v_pk_fma_f32 v[6:7], v[8:9], v[38:39], v[6:7] op_sel_hi:[1,0,1]
	v_mov_b32_e32 v47, v23
	v_pk_add_f32 v[22:23], v[32:33], v[0:1]
	v_mov_b32_e32 v59, v7
	v_mov_b32_e32 v64, v13
	v_mov_b32_e32 v75, v3
	v_pk_add_f32 v[6:7], v[22:23], v[58:59]
	v_pk_fma_f32 v[36:37], v[10:11], v[30:31], v[62:63] op_sel:[0,0,1] op_sel_hi:[1,1,0] neg_lo:[0,0,1] neg_hi:[0,0,1]
	v_pk_fma_f32 v[10:11], v[10:11], v[30:31], v[62:63] op_sel:[0,0,1] op_sel_hi:[1,0,0]
	v_pk_mul_f32 v[30:31], v[48:49], v[64:65] op_sel_hi:[1,0]
	v_mov_b32_e32 v45, v5
	v_pk_add_f32 v[6:7], v[6:7], v[74:75]
	v_mov_b32_e32 v68, v25
	v_pk_fma_f32 v[8:9], v[48:49], v[12:13], v[30:31] op_sel:[0,0,1] op_sel_hi:[1,1,0] neg_lo:[0,0,1] neg_hi:[0,0,1]
	v_pk_fma_f32 v[12:13], v[48:49], v[12:13], v[30:31] op_sel:[0,0,1] op_sel_hi:[1,0,0]
	v_mov_b32_e32 v37, v11
	v_pk_add_f32 v[6:7], v[6:7], v[44:45]
	s_waitcnt vmcnt(0)
	v_pk_mul_f32 v[70:71], v[54:55], v[26:27] op_sel:[0,1]
	v_mov_b32_e32 v72, v29
	v_pk_mul_f32 v[50:51], v[52:53], v[68:69] op_sel_hi:[1,0]
	v_mov_b32_e32 v9, v13
	v_pk_add_f32 v[6:7], v[6:7], v[36:37]
	v_pk_fma_f32 v[56:57], v[54:55], v[26:27], v[70:71] op_sel:[0,0,1] op_sel_hi:[1,1,0] neg_lo:[0,0,1] neg_hi:[0,0,1]
	v_pk_fma_f32 v[26:27], v[54:55], v[26:27], v[70:71] op_sel:[0,0,1] op_sel_hi:[1,0,0]
	v_pk_mul_f32 v[54:55], v[14:15], v[72:73] op_sel_hi:[1,0]
	v_pk_fma_f32 v[4:5], v[52:53], v[24:25], v[50:51] op_sel:[0,0,1] op_sel_hi:[1,1,0] neg_lo:[0,0,1] neg_hi:[0,0,1]
	v_pk_fma_f32 v[2:3], v[52:53], v[24:25], v[50:51] op_sel:[0,0,1] op_sel_hi:[1,0,0]
	v_pk_add_f32 v[6:7], v[6:7], v[8:9]
	v_pk_fma_f32 v[10:11], v[14:15], v[28:29], v[54:55] op_sel:[0,0,1] op_sel_hi:[1,0,0] neg_lo:[0,0,1] neg_hi:[0,0,1]
	v_mov_b32_e32 v5, v3
	v_pk_add_f32 v[6:7], v[6:7], v[46:47]
	v_mov_b32_e32 v57, v27
	v_pk_fma_f32 v[14:15], v[14:15], v[28:29], v[54:55] op_sel:[0,0,1] op_sel_hi:[1,0,0]
	v_add_f32_e32 v38, v32, v10
	v_sub_f32_e32 v39, v32, v10
	v_pk_add_f32 v[52:53], v[74:75], v[4:5]
	v_pk_add_f32 v[22:23], v[74:75], v[4:5] neg_lo:[0,1] neg_hi:[0,1]
	v_pk_add_f32 v[4:5], v[6:7], v[4:5]
	v_mov_b32_e32 v11, v15
	v_add_f32_e32 v3, v33, v15
	v_sub_f32_e32 v2, v33, v15
	v_pk_add_f32 v[4:5], v[4:5], v[56:57]
	v_pk_mul_f32 v[6:7], v[38:39], s[18:19]
	v_pk_add_f32 v[50:51], v[58:59], v[56:57]
	v_pk_add_f32 v[12:13], v[58:59], v[56:57] neg_lo:[0,1] neg_hi:[0,1]
	v_pk_add_f32 v[54:55], v[36:37], v[8:9]
	v_pk_add_f32 v[58:59], v[36:37], v[8:9] neg_lo:[0,1] neg_hi:[0,1]
	v_pk_add_f32 v[36:37], v[4:5], v[10:11]
	v_pk_fma_f32 v[8:9], v[2:3], s[4:5], v[6:7] neg_lo:[1,0,0] neg_hi:[1,0,0]
	v_pk_fma_f32 v[4:5], v[2:3], s[4:5], v[6:7]
	v_pk_add_f32 v[48:49], v[44:45], v[46:47]
	v_mov_b32_e32 v9, v5
	v_pk_add_f32 v[14:15], v[8:9], v[0:1]
	v_mov_b32_e32 v9, v51
	v_mov_b32_e32 v51, v12
	v_mov_b32_e32 v8, v13
	v_pk_mul_f32 v[12:13], v[50:51], s[20:21]
	v_pk_add_f32 v[28:29], v[44:45], v[46:47] neg_lo:[0,1] neg_hi:[0,1]
	v_pk_fma_f32 v[24:25], v[8:9], s[10:11], v[12:13] neg_lo:[1,0,0] neg_hi:[1,0,0]
	v_pk_fma_f32 v[10:11], v[8:9], s[10:11], v[12:13]
	v_pk_mul_f32 v[60:61], v[50:51], s[26:27]
	v_mov_b32_e32 v25, v11
	v_pk_add_f32 v[26:27], v[24:25], v[14:15]
	v_mov_b32_e32 v15, v53
	v_mov_b32_e32 v53, v22
	;; [unrolled: 1-line block ×3, first 2 shown]
	v_pk_mul_f32 v[24:25], v[52:53], s[22:23]
	v_pk_fma_f32 v[62:63], v[8:9], s[14:15], v[60:61] neg_lo:[1,0,0] neg_hi:[1,0,0]
	v_pk_fma_f32 v[30:31], v[14:15], s[12:13], v[24:25] neg_lo:[1,0,0] neg_hi:[1,0,0]
	v_pk_fma_f32 v[22:23], v[14:15], s[12:13], v[24:25]
	v_pk_fma_f32 v[64:65], v[8:9], s[14:15], v[60:61]
	v_mov_b32_e32 v31, v23
	v_pk_add_f32 v[32:33], v[30:31], v[26:27]
	v_mov_b32_e32 v27, v49
	v_mov_b32_e32 v49, v28
	;; [unrolled: 1-line block ×3, first 2 shown]
	v_pk_mul_f32 v[30:31], v[48:49], s[26:27]
	v_mov_b32_e32 v63, v65
	v_pk_fma_f32 v[44:45], v[26:27], s[14:15], v[30:31] neg_lo:[1,0,0] neg_hi:[1,0,0]
	v_pk_fma_f32 v[28:29], v[26:27], s[14:15], v[30:31]
	v_pk_mul_f32 v[82:83], v[50:51], s[44:45]
	v_mov_b32_e32 v45, v29
	v_pk_add_f32 v[44:45], v[44:45], v[32:33]
	v_mov_b32_e32 v33, v55
	v_mov_b32_e32 v55, v58
	;; [unrolled: 1-line block ×3, first 2 shown]
	v_pk_mul_f32 v[46:47], v[54:55], s[30:31]
	v_pk_fma_f32 v[84:85], v[8:9], s[24:25], v[82:83] neg_lo:[1,0,0] neg_hi:[1,0,0]
	v_pk_fma_f32 v[56:57], v[32:33], s[16:17], v[46:47] neg_lo:[1,0,0] neg_hi:[1,0,0]
	v_pk_fma_f32 v[58:59], v[32:33], s[16:17], v[46:47]
	v_pk_fma_f32 v[86:87], v[8:9], s[24:25], v[82:83]
	v_mov_b32_e32 v57, v59
	v_pk_add_f32 v[44:45], v[56:57], v[44:45]
	ds_write2_b64 v130, v[36:37], v[44:45] offset1:8
	v_pk_mul_f32 v[36:37], v[38:39], s[20:21]
	v_mov_b32_e32 v85, v87
	v_pk_fma_f32 v[44:45], v[2:3], s[10:11], v[36:37] neg_lo:[1,0,0] neg_hi:[1,0,0]
	v_pk_fma_f32 v[56:57], v[2:3], s[10:11], v[36:37]
	v_pk_mul_f32 v[100:101], v[50:51], s[42:43]
	v_mov_b32_e32 v45, v57
	v_pk_add_f32 v[44:45], v[44:45], v[0:1]
	v_pk_fma_f32 v[102:103], v[8:9], s[28:29], v[100:101] neg_lo:[1,0,0] neg_hi:[1,0,0]
	v_pk_add_f32 v[44:45], v[62:63], v[44:45]
	v_pk_mul_f32 v[62:63], v[52:53], s[44:45]
	v_pk_fma_f32 v[104:105], v[8:9], s[28:29], v[100:101]
	v_pk_fma_f32 v[66:67], v[14:15], s[24:25], v[62:63] neg_lo:[1,0,0] neg_hi:[1,0,0]
	v_pk_fma_f32 v[68:69], v[14:15], s[24:25], v[62:63]
	v_mov_b32_e32 v103, v105
	v_mov_b32_e32 v67, v69
	v_pk_add_f32 v[44:45], v[66:67], v[44:45]
	v_pk_mul_f32 v[66:67], v[48:49], s[42:43]
	v_pk_mul_f32 v[50:51], v[50:51], s[38:39]
	v_pk_fma_f32 v[70:71], v[26:27], s[28:29], v[66:67] neg_lo:[1,0,0] neg_hi:[1,0,0]
	v_pk_fma_f32 v[72:73], v[26:27], s[28:29], v[66:67]
	v_pk_fma_f32 v[120:121], v[8:9], s[34:35], v[50:51] neg_lo:[1,0,0] neg_hi:[1,0,0]
	v_mov_b32_e32 v71, v73
	v_pk_add_f32 v[44:45], v[70:71], v[44:45]
	v_pk_mul_f32 v[70:71], v[54:55], s[38:39]
	v_pk_fma_f32 v[122:123], v[8:9], s[34:35], v[50:51]
	v_pk_fma_f32 v[74:75], v[32:33], s[34:35], v[70:71] neg_lo:[1,0,0] neg_hi:[1,0,0]
	v_pk_fma_f32 v[76:77], v[32:33], s[34:35], v[70:71]
	v_mov_b32_e32 v121, v123
	v_mov_b32_e32 v75, v77
	v_pk_add_f32 v[44:45], v[74:75], v[44:45]
	v_pk_mul_f32 v[74:75], v[38:39], s[22:23]
	v_pk_fma_f32 v[36:37], v[2:3], s[10:11], v[36:37] neg_lo:[0,0,1] neg_hi:[0,0,1]
	v_pk_fma_f32 v[78:79], v[2:3], s[12:13], v[74:75] neg_lo:[1,0,0] neg_hi:[1,0,0]
	v_pk_fma_f32 v[80:81], v[2:3], s[12:13], v[74:75]
	v_mov_b32_e32 v57, v37
	v_mov_b32_e32 v79, v81
	v_pk_add_f32 v[78:79], v[78:79], v[0:1]
	v_pk_fma_f32 v[36:37], v[8:9], s[14:15], v[60:61] neg_lo:[0,0,1] neg_hi:[0,0,1]
	v_pk_add_f32 v[78:79], v[84:85], v[78:79]
	v_pk_mul_f32 v[84:85], v[52:53], s[40:41]
	v_mov_b32_e32 v65, v37
	v_pk_fma_f32 v[88:89], v[14:15], s[36:37], v[84:85] neg_lo:[1,0,0] neg_hi:[1,0,0]
	v_pk_fma_f32 v[90:91], v[14:15], s[36:37], v[84:85]
	v_pk_add_f32 v[36:37], v[56:57], v[0:1]
	v_mov_b32_e32 v89, v91
	v_pk_add_f32 v[78:79], v[88:89], v[78:79]
	v_pk_mul_f32 v[88:89], v[48:49], s[18:19]
	v_pk_add_f32 v[36:37], v[64:65], v[36:37]
	v_pk_fma_f32 v[92:93], v[26:27], s[4:5], v[88:89] neg_lo:[1,0,0] neg_hi:[1,0,0]
	v_pk_fma_f32 v[94:95], v[26:27], s[4:5], v[88:89]
	s_nop 0
	v_mov_b32_e32 v93, v95
	v_pk_add_f32 v[78:79], v[92:93], v[78:79]
	v_pk_mul_f32 v[92:93], v[54:55], s[26:27]
	s_nop 0
	v_pk_fma_f32 v[96:97], v[32:33], s[14:15], v[92:93] neg_lo:[1,0,0] neg_hi:[1,0,0]
	v_pk_fma_f32 v[98:99], v[32:33], s[14:15], v[92:93]
	s_nop 0
	v_mov_b32_e32 v97, v99
	v_pk_add_f32 v[78:79], v[96:97], v[78:79]
	ds_write2_b64 v130, v[44:45], v[78:79] offset0:16 offset1:24
	v_pk_mul_f32 v[44:45], v[38:39], s[26:27]
	v_pk_mul_f32 v[38:39], v[38:39], s[30:31]
	v_pk_fma_f32 v[78:79], v[2:3], s[14:15], v[44:45] neg_lo:[1,0,0] neg_hi:[1,0,0]
	v_pk_fma_f32 v[96:97], v[2:3], s[14:15], v[44:45]
	v_pk_fma_f32 v[118:119], v[2:3], s[16:17], v[38:39]
	v_mov_b32_e32 v79, v97
	v_pk_add_f32 v[78:79], v[78:79], v[0:1]
	v_pk_fma_f32 v[44:45], v[2:3], s[14:15], v[44:45] neg_lo:[0,0,1] neg_hi:[0,0,1]
	v_pk_add_f32 v[78:79], v[102:103], v[78:79]
	v_pk_mul_f32 v[102:103], v[52:53], s[18:19]
	v_pk_mul_f32 v[52:53], v[52:53], s[26:27]
	v_pk_fma_f32 v[106:107], v[14:15], s[4:5], v[102:103] neg_lo:[1,0,0] neg_hi:[1,0,0]
	v_pk_fma_f32 v[108:109], v[14:15], s[4:5], v[102:103]
	v_pk_fma_f32 v[124:125], v[14:15], s[14:15], v[52:53]
	v_mov_b32_e32 v107, v109
	v_pk_add_f32 v[78:79], v[106:107], v[78:79]
	v_pk_mul_f32 v[106:107], v[48:49], s[30:31]
	v_pk_mul_f32 v[48:49], v[48:49], s[40:41]
	v_pk_fma_f32 v[110:111], v[26:27], s[16:17], v[106:107] neg_lo:[1,0,0] neg_hi:[1,0,0]
	v_pk_fma_f32 v[112:113], v[26:27], s[16:17], v[106:107]
	v_pk_fma_f32 v[126:127], v[26:27], s[36:37], v[48:49]
	v_mov_b32_e32 v111, v113
	;; [unrolled: 7-line block ×3, first 2 shown]
	v_pk_add_f32 v[78:79], v[114:115], v[78:79]
	v_pk_fma_f32 v[114:115], v[2:3], s[16:17], v[38:39] neg_lo:[1,0,0] neg_hi:[1,0,0]
	v_pk_fma_f32 v[38:39], v[2:3], s[16:17], v[38:39] neg_lo:[0,0,1] neg_hi:[0,0,1]
	v_mov_b32_e32 v115, v119
	v_pk_add_f32 v[114:115], v[114:115], v[0:1]
	v_mov_b32_e32 v119, v39
	v_pk_add_f32 v[114:115], v[120:121], v[114:115]
	v_pk_fma_f32 v[120:121], v[14:15], s[14:15], v[52:53] neg_lo:[1,0,0] neg_hi:[1,0,0]
	v_pk_fma_f32 v[38:39], v[8:9], s[34:35], v[50:51] neg_lo:[0,0,1] neg_hi:[0,0,1]
	v_mov_b32_e32 v121, v125
	v_pk_add_f32 v[114:115], v[120:121], v[114:115]
	v_pk_fma_f32 v[120:121], v[26:27], s[36:37], v[48:49] neg_lo:[1,0,0] neg_hi:[1,0,0]
	v_pk_fma_f32 v[48:49], v[26:27], s[36:37], v[48:49] neg_lo:[0,0,1] neg_hi:[0,0,1]
	v_mov_b32_e32 v121, v127
	v_pk_add_f32 v[114:115], v[120:121], v[114:115]
	v_pk_fma_f32 v[120:121], v[32:33], s[12:13], v[54:55] neg_lo:[1,0,0] neg_hi:[1,0,0]
	v_mov_b32_e32 v127, v49
	v_pk_fma_f32 v[48:49], v[32:33], s[12:13], v[54:55] neg_lo:[0,0,1] neg_hi:[0,0,1]
	v_mov_b32_e32 v97, v45
	;; [unrolled: 2-line block ×3, first 2 shown]
	v_mov_b32_e32 v123, v39
	v_pk_add_f32 v[38:39], v[118:119], v[0:1]
	v_pk_fma_f32 v[50:51], v[14:15], s[14:15], v[52:53] neg_lo:[0,0,1] neg_hi:[0,0,1]
	v_mov_b32_e32 v129, v49
	v_mov_b32_e32 v105, v45
	v_pk_add_f32 v[44:45], v[96:97], v[0:1]
	v_pk_fma_f32 v[48:49], v[14:15], s[4:5], v[102:103] neg_lo:[0,0,1] neg_hi:[0,0,1]
	v_pk_add_f32 v[38:39], v[122:123], v[38:39]
	v_mov_b32_e32 v125, v51
	v_pk_add_f32 v[44:45], v[104:105], v[44:45]
	v_mov_b32_e32 v109, v49
	v_pk_fma_f32 v[48:49], v[26:27], s[16:17], v[106:107] neg_lo:[0,0,1] neg_hi:[0,0,1]
	v_pk_add_f32 v[38:39], v[124:125], v[38:39]
	v_pk_add_f32 v[44:45], v[108:109], v[44:45]
	v_mov_b32_e32 v113, v49
	v_pk_fma_f32 v[48:49], v[32:33], s[36:37], v[110:111] neg_lo:[0,0,1] neg_hi:[0,0,1]
	v_pk_add_f32 v[38:39], v[126:127], v[38:39]
	v_pk_add_f32 v[44:45], v[112:113], v[44:45]
	v_mov_b32_e32 v117, v49
	v_pk_add_f32 v[38:39], v[128:129], v[38:39]
	v_pk_add_f32 v[44:45], v[116:117], v[44:45]
	ds_write2_b64 v130, v[38:39], v[44:45] offset0:48 offset1:56
	v_pk_fma_f32 v[38:39], v[2:3], s[12:13], v[74:75] neg_lo:[0,0,1] neg_hi:[0,0,1]
	v_pk_fma_f32 v[2:3], v[2:3], s[4:5], v[6:7] neg_lo:[0,0,1] neg_hi:[0,0,1]
	v_mov_b32_e32 v81, v39
	v_pk_fma_f32 v[38:39], v[8:9], s[24:25], v[82:83] neg_lo:[0,0,1] neg_hi:[0,0,1]
	v_pk_fma_f32 v[44:45], v[14:15], s[36:37], v[84:85] neg_lo:[0,0,1] neg_hi:[0,0,1]
	v_mov_b32_e32 v5, v3
	v_pk_fma_f32 v[2:3], v[8:9], s[10:11], v[12:13] neg_lo:[0,0,1] neg_hi:[0,0,1]
	v_mov_b32_e32 v87, v39
	v_pk_add_f32 v[38:39], v[80:81], v[0:1]
	v_mov_b32_e32 v91, v45
	v_pk_fma_f32 v[44:45], v[26:27], s[4:5], v[88:89] neg_lo:[0,0,1] neg_hi:[0,0,1]
	v_pk_add_f32 v[0:1], v[4:5], v[0:1]
	v_mov_b32_e32 v11, v3
	v_pk_fma_f32 v[2:3], v[14:15], s[12:13], v[24:25] neg_lo:[0,0,1] neg_hi:[0,0,1]
	v_mov_b32_e32 v95, v45
	v_pk_fma_f32 v[44:45], v[32:33], s[14:15], v[92:93] neg_lo:[0,0,1] neg_hi:[0,0,1]
	v_pk_add_f32 v[0:1], v[10:11], v[0:1]
	v_mov_b32_e32 v23, v3
	v_pk_fma_f32 v[2:3], v[26:27], s[14:15], v[30:31] neg_lo:[0,0,1] neg_hi:[0,0,1]
	;; [unrolled: 5-line block ×3, first 2 shown]
	v_pk_add_f32 v[38:39], v[86:87], v[38:39]
	v_mov_b32_e32 v69, v45
	v_pk_fma_f32 v[44:45], v[26:27], s[28:29], v[66:67] neg_lo:[0,0,1] neg_hi:[0,0,1]
	v_pk_add_f32 v[0:1], v[28:29], v[0:1]
	v_mov_b32_e32 v59, v3
	v_pk_add_f32 v[38:39], v[90:91], v[38:39]
	v_pk_add_f32 v[36:37], v[68:69], v[36:37]
	v_mov_b32_e32 v73, v45
	v_pk_fma_f32 v[44:45], v[32:33], s[34:35], v[70:71] neg_lo:[0,0,1] neg_hi:[0,0,1]
	v_pk_add_f32 v[0:1], v[58:59], v[0:1]
	v_pk_add_f32 v[38:39], v[94:95], v[38:39]
	;; [unrolled: 1-line block ×3, first 2 shown]
	v_mov_b32_e32 v77, v45
	ds_write_b64 v130, v[0:1] offset:640
	v_mul_u32_u24_e32 v0, 10, v20
	v_pk_add_f32 v[114:115], v[120:121], v[114:115]
	v_pk_add_f32 v[38:39], v[98:99], v[38:39]
	;; [unrolled: 1-line block ×3, first 2 shown]
	v_lshlrev_b32_e32 v0, 3, v0
	ds_write2_b64 v130, v[78:79], v[114:115] offset0:32 offset1:40
	ds_write2_b64 v130, v[38:39], v[36:37] offset0:64 offset1:72
	s_waitcnt lgkmcnt(0)
	s_barrier
	global_load_dwordx4 v[6:9], v0, s[8:9] offset:688
	global_load_dwordx4 v[10:13], v0, s[8:9] offset:704
	;; [unrolled: 1-line block ×5, first 2 shown]
	ds_read2_b64 v[28:31], v21 offset0:88 offset1:176
	ds_read_b64 v[0:1], v34
	ds_read2_b64 v[48:51], v43 offset0:8 offset1:96
	ds_read2_b64 v[32:35], v35 offset0:56 offset1:144
	v_add_u32_e32 v4, 0x1800, v21
	ds_read2_b64 v[56:59], v4 offset0:24 offset1:112
	ds_read2_b64 v[52:55], v42 offset0:104 offset1:192
	s_waitcnt lgkmcnt(0)
	s_barrier
	s_waitcnt vmcnt(4)
	v_mov_b32_e32 v4, v9
	v_mov_b32_e32 v5, v8
	v_mul_f32_e32 v2, v7, v29
	v_mul_f32_e32 v3, v7, v28
	v_pk_mul_f32 v[4:5], v[4:5], v[30:31] op_sel:[0,1]
	v_fma_f32 v2, v6, v28, -v2
	v_fmac_f32_e32 v3, v6, v29
	v_pk_fma_f32 v[6:7], v[8:9], v[30:31], v[4:5] neg_lo:[0,0,1] neg_hi:[0,0,1]
	v_pk_fma_f32 v[4:5], v[8:9], v[30:31], v[4:5] op_sel_hi:[1,0,1]
	s_nop 0
	v_mov_b32_e32 v7, v5
	s_waitcnt vmcnt(3)
	v_pk_mul_f32 v[4:5], v[10:11], v[48:49] op_sel:[0,1]
	s_nop 0
	v_pk_fma_f32 v[8:9], v[10:11], v[48:49], v[4:5] op_sel:[0,0,1] op_sel_hi:[1,1,0] neg_lo:[0,0,1] neg_hi:[0,0,1]
	v_pk_fma_f32 v[4:5], v[10:11], v[48:49], v[4:5] op_sel:[0,0,1] op_sel_hi:[1,0,0]
	s_nop 0
	v_mov_b32_e32 v9, v5
	v_pk_mul_f32 v[4:5], v[12:13], v[50:51] op_sel:[0,1]
	s_nop 0
	v_pk_fma_f32 v[10:11], v[12:13], v[50:51], v[4:5] op_sel:[0,0,1] op_sel_hi:[1,1,0] neg_lo:[0,0,1] neg_hi:[0,0,1]
	v_pk_fma_f32 v[4:5], v[12:13], v[50:51], v[4:5] op_sel:[0,0,1] op_sel_hi:[1,0,0]
	s_nop 0
	v_mov_b32_e32 v11, v5
	s_waitcnt vmcnt(2)
	v_pk_mul_f32 v[4:5], v[24:25], v[32:33] op_sel:[0,1]
	s_nop 0
	v_pk_fma_f32 v[14:15], v[24:25], v[32:33], v[4:5] op_sel:[0,0,1] op_sel_hi:[1,1,0] neg_lo:[0,0,1] neg_hi:[0,0,1]
	v_pk_fma_f32 v[4:5], v[24:25], v[32:33], v[4:5] op_sel:[0,0,1] op_sel_hi:[1,0,0]
	s_nop 0
	v_mov_b32_e32 v4, v27
	v_mov_b32_e32 v15, v5
	v_pk_mul_f32 v[4:5], v[34:35], v[4:5] op_sel_hi:[1,0]
	s_nop 0
	v_pk_fma_f32 v[24:25], v[34:35], v[26:27], v[4:5] op_sel:[0,0,1] op_sel_hi:[1,1,0] neg_lo:[0,0,1] neg_hi:[0,0,1]
	v_pk_fma_f32 v[4:5], v[34:35], v[26:27], v[4:5] op_sel:[0,0,1] op_sel_hi:[1,0,0]
	s_nop 0
	v_mov_b32_e32 v25, v5
	s_waitcnt vmcnt(1)
	v_pk_mul_f32 v[4:5], v[52:53], v[36:37] op_sel:[0,1]
	s_nop 0
	v_pk_fma_f32 v[28:29], v[52:53], v[36:37], v[4:5] op_sel:[0,0,1] op_sel_hi:[1,1,0] neg_lo:[0,0,1] neg_hi:[0,0,1]
	v_pk_fma_f32 v[4:5], v[52:53], v[36:37], v[4:5] op_sel:[0,0,1] op_sel_hi:[1,0,0]
	s_nop 0
	v_mov_b32_e32 v4, v39
	v_mov_b32_e32 v29, v5
	v_pk_mul_f32 v[4:5], v[54:55], v[4:5] op_sel_hi:[1,0]
	v_pk_add_f32 v[52:53], v[10:11], v[28:29]
	v_pk_fma_f32 v[32:33], v[54:55], v[38:39], v[4:5] op_sel:[0,0,1] op_sel_hi:[1,1,0] neg_lo:[0,0,1] neg_hi:[0,0,1]
	v_pk_fma_f32 v[4:5], v[54:55], v[38:39], v[4:5] op_sel:[0,0,1] op_sel_hi:[1,0,0]
	v_pk_add_f32 v[30:31], v[10:11], v[28:29] neg_lo:[0,1] neg_hi:[0,1]
	v_mov_b32_e32 v33, v5
	s_waitcnt vmcnt(0)
	v_pk_mul_f32 v[4:5], v[56:57], v[44:45] op_sel:[0,1]
	v_pk_add_f32 v[50:51], v[8:9], v[32:33]
	v_pk_fma_f32 v[34:35], v[56:57], v[44:45], v[4:5] op_sel:[0,0,1] op_sel_hi:[1,1,0] neg_lo:[0,0,1] neg_hi:[0,0,1]
	v_pk_fma_f32 v[4:5], v[56:57], v[44:45], v[4:5] op_sel:[0,0,1] op_sel_hi:[1,0,0]
	v_pk_add_f32 v[26:27], v[8:9], v[32:33] neg_lo:[0,1] neg_hi:[0,1]
	v_mov_b32_e32 v4, v47
	v_mov_b32_e32 v35, v5
	v_pk_mul_f32 v[4:5], v[58:59], v[4:5] op_sel_hi:[1,0]
	v_pk_add_f32 v[48:49], v[6:7], v[34:35]
	v_pk_fma_f32 v[36:37], v[58:59], v[46:47], v[4:5] op_sel:[0,0,1] op_sel_hi:[1,0,0] neg_lo:[0,0,1] neg_hi:[0,0,1]
	v_pk_fma_f32 v[44:45], v[58:59], v[46:47], v[4:5] op_sel:[0,0,1] op_sel_hi:[1,0,0]
	v_add_f32_e32 v46, v2, v36
	v_sub_f32_e32 v47, v2, v36
	v_pk_add_f32 v[22:23], v[6:7], v[34:35] neg_lo:[0,1] neg_hi:[0,1]
	v_pk_add_f32 v[38:39], v[14:15], v[24:25]
	v_pk_add_f32 v[54:55], v[14:15], v[24:25] neg_lo:[0,1] neg_hi:[0,1]
	v_add_f32_e32 v5, v3, v45
	v_sub_f32_e32 v4, v3, v45
	v_mov_b32_e32 v12, v23
	v_mov_b32_e32 v13, v49
	;; [unrolled: 1-line block ×12, first 2 shown]
	v_pk_mul_f32 v[54:55], v[46:47], s[20:21]
	v_pk_mul_f32 v[60:61], v[48:49], s[26:27]
	v_pk_fma_f32 v[56:57], v[4:5], s[10:11], v[54:55] neg_lo:[1,0,0] neg_hi:[1,0,0]
	v_pk_fma_f32 v[58:59], v[4:5], s[10:11], v[54:55]
	v_pk_fma_f32 v[62:63], v[12:13], s[14:15], v[60:61] neg_lo:[1,0,0] neg_hi:[1,0,0]
	v_mov_b32_e32 v57, v59
	v_pk_fma_f32 v[64:65], v[12:13], s[14:15], v[60:61]
	v_pk_add_f32 v[56:57], v[56:57], v[0:1]
	v_mov_b32_e32 v63, v65
	v_pk_add_f32 v[56:57], v[62:63], v[56:57]
	v_pk_mul_f32 v[62:63], v[50:51], s[44:45]
	v_pk_mul_f32 v[82:83], v[48:49], s[44:45]
	v_pk_fma_f32 v[66:67], v[22:23], s[24:25], v[62:63] neg_lo:[1,0,0] neg_hi:[1,0,0]
	v_pk_fma_f32 v[68:69], v[22:23], s[24:25], v[62:63]
	v_pk_fma_f32 v[84:85], v[12:13], s[24:25], v[82:83] neg_lo:[1,0,0] neg_hi:[1,0,0]
	v_mov_b32_e32 v67, v69
	v_pk_add_f32 v[56:57], v[66:67], v[56:57]
	v_pk_mul_f32 v[66:67], v[52:53], s[42:43]
	v_pk_fma_f32 v[86:87], v[12:13], s[24:25], v[82:83]
	v_pk_fma_f32 v[70:71], v[26:27], s[28:29], v[66:67] neg_lo:[1,0,0] neg_hi:[1,0,0]
	v_pk_fma_f32 v[72:73], v[26:27], s[28:29], v[66:67]
	v_mov_b32_e32 v85, v87
	v_mov_b32_e32 v71, v73
	v_pk_add_f32 v[56:57], v[70:71], v[56:57]
	v_pk_mul_f32 v[70:71], v[38:39], s[38:39]
	v_add_u32_e32 v37, 0x400, v21
	v_pk_fma_f32 v[74:75], v[30:31], s[34:35], v[70:71] neg_lo:[1,0,0] neg_hi:[1,0,0]
	v_pk_fma_f32 v[76:77], v[30:31], s[34:35], v[70:71]
	v_pk_mul_f32 v[100:101], v[48:49], s[42:43]
	v_mov_b32_e32 v75, v77
	v_pk_add_f32 v[56:57], v[74:75], v[56:57]
	v_pk_mul_f32 v[74:75], v[46:47], s[22:23]
	v_pk_fma_f32 v[102:103], v[12:13], s[28:29], v[100:101] neg_lo:[1,0,0] neg_hi:[1,0,0]
	v_pk_fma_f32 v[78:79], v[4:5], s[12:13], v[74:75] neg_lo:[1,0,0] neg_hi:[1,0,0]
	v_pk_fma_f32 v[80:81], v[4:5], s[12:13], v[74:75]
	v_pk_fma_f32 v[104:105], v[12:13], s[28:29], v[100:101]
	v_mov_b32_e32 v79, v81
	v_pk_add_f32 v[78:79], v[78:79], v[0:1]
	v_mov_b32_e32 v103, v105
	v_pk_add_f32 v[78:79], v[84:85], v[78:79]
	v_pk_mul_f32 v[84:85], v[50:51], s[40:41]
	v_pk_mul_f32 v[122:123], v[48:49], s[38:39]
	v_pk_fma_f32 v[88:89], v[22:23], s[36:37], v[84:85] neg_lo:[1,0,0] neg_hi:[1,0,0]
	v_pk_fma_f32 v[90:91], v[22:23], s[36:37], v[84:85]
	v_pk_fma_f32 v[124:125], v[12:13], s[34:35], v[122:123] neg_lo:[1,0,0] neg_hi:[1,0,0]
	v_mov_b32_e32 v89, v91
	v_pk_add_f32 v[78:79], v[88:89], v[78:79]
	v_pk_mul_f32 v[88:89], v[52:53], s[18:19]
	v_pk_fma_f32 v[126:127], v[12:13], s[34:35], v[122:123]
	v_pk_fma_f32 v[92:93], v[26:27], s[4:5], v[88:89] neg_lo:[1,0,0] neg_hi:[1,0,0]
	v_pk_fma_f32 v[94:95], v[26:27], s[4:5], v[88:89]
	v_mov_b32_e32 v125, v127
	v_mov_b32_e32 v93, v95
	v_pk_add_f32 v[78:79], v[92:93], v[78:79]
	v_pk_mul_f32 v[92:93], v[38:39], s[26:27]
	v_pk_add_f32 v[2:3], v[2:3], v[0:1]
	v_pk_fma_f32 v[96:97], v[30:31], s[14:15], v[92:93] neg_lo:[1,0,0] neg_hi:[1,0,0]
	v_pk_fma_f32 v[98:99], v[30:31], s[14:15], v[92:93]
	v_pk_add_f32 v[2:3], v[2:3], v[6:7]
	v_mov_b32_e32 v97, v99
	v_pk_add_f32 v[78:79], v[96:97], v[78:79]
	ds_write2_b64 v37, v[56:57], v[78:79] offset0:48 offset1:136
	v_pk_mul_f32 v[56:57], v[46:47], s[26:27]
	v_pk_add_f32 v[2:3], v[2:3], v[8:9]
	v_pk_fma_f32 v[78:79], v[4:5], s[14:15], v[56:57] neg_lo:[1,0,0] neg_hi:[1,0,0]
	v_pk_fma_f32 v[96:97], v[4:5], s[14:15], v[56:57]
	v_pk_add_f32 v[2:3], v[2:3], v[10:11]
	v_mov_b32_e32 v79, v97
	v_pk_add_f32 v[78:79], v[78:79], v[0:1]
	v_pk_add_f32 v[2:3], v[2:3], v[14:15]
	;; [unrolled: 1-line block ×3, first 2 shown]
	v_pk_mul_f32 v[102:103], v[50:51], s[18:19]
	v_pk_mul_f32 v[6:7], v[46:47], s[18:19]
	v_pk_fma_f32 v[106:107], v[22:23], s[4:5], v[102:103] neg_lo:[1,0,0] neg_hi:[1,0,0]
	v_pk_fma_f32 v[108:109], v[22:23], s[4:5], v[102:103]
	v_pk_fma_f32 v[56:57], v[4:5], s[14:15], v[56:57] neg_lo:[0,0,1] neg_hi:[0,0,1]
	v_mov_b32_e32 v107, v109
	v_pk_add_f32 v[78:79], v[106:107], v[78:79]
	v_pk_mul_f32 v[106:107], v[52:53], s[30:31]
	v_pk_add_f32 v[2:3], v[2:3], v[24:25]
	v_pk_fma_f32 v[110:111], v[26:27], s[16:17], v[106:107] neg_lo:[1,0,0] neg_hi:[1,0,0]
	v_pk_fma_f32 v[112:113], v[26:27], s[16:17], v[106:107]
	v_pk_fma_f32 v[8:9], v[4:5], s[4:5], v[6:7] neg_lo:[1,0,0] neg_hi:[1,0,0]
	v_mov_b32_e32 v111, v113
	v_pk_add_f32 v[78:79], v[110:111], v[78:79]
	v_pk_mul_f32 v[110:111], v[38:39], s[40:41]
	v_pk_fma_f32 v[10:11], v[4:5], s[4:5], v[6:7]
	v_pk_fma_f32 v[114:115], v[30:31], s[36:37], v[110:111] neg_lo:[1,0,0] neg_hi:[1,0,0]
	v_pk_fma_f32 v[116:117], v[30:31], s[36:37], v[110:111]
	v_pk_mul_f32 v[14:15], v[48:49], s[20:21]
	v_mov_b32_e32 v115, v117
	v_pk_add_f32 v[78:79], v[114:115], v[78:79]
	v_pk_mul_f32 v[114:115], v[46:47], s[30:31]
	v_mov_b32_e32 v97, v57
	v_pk_fma_f32 v[118:119], v[4:5], s[16:17], v[114:115] neg_lo:[1,0,0] neg_hi:[1,0,0]
	v_pk_fma_f32 v[120:121], v[4:5], s[16:17], v[114:115]
	v_pk_fma_f32 v[56:57], v[12:13], s[28:29], v[100:101] neg_lo:[0,0,1] neg_hi:[0,0,1]
	v_mov_b32_e32 v119, v121
	v_pk_add_f32 v[118:119], v[118:119], v[0:1]
	v_pk_add_f32 v[2:3], v[2:3], v[28:29]
	;; [unrolled: 1-line block ×3, first 2 shown]
	v_pk_mul_f32 v[124:125], v[50:51], s[26:27]
	v_mov_b32_e32 v9, v11
	v_pk_fma_f32 v[128:129], v[22:23], s[14:15], v[124:125] neg_lo:[1,0,0] neg_hi:[1,0,0]
	v_pk_fma_f32 v[130:131], v[22:23], s[14:15], v[124:125]
	v_pk_fma_f32 v[24:25], v[12:13], s[10:11], v[14:15] neg_lo:[1,0,0] neg_hi:[1,0,0]
	v_mov_b32_e32 v129, v131
	v_pk_add_f32 v[118:119], v[128:129], v[118:119]
	v_pk_mul_f32 v[128:129], v[52:53], s[40:41]
	v_pk_fma_f32 v[28:29], v[12:13], s[10:11], v[14:15]
	v_pk_fma_f32 v[132:133], v[26:27], s[36:37], v[128:129] neg_lo:[1,0,0] neg_hi:[1,0,0]
	v_pk_fma_f32 v[134:135], v[26:27], s[36:37], v[128:129]
	v_mov_b32_e32 v105, v57
	v_mov_b32_e32 v133, v135
	v_pk_add_f32 v[118:119], v[132:133], v[118:119]
	v_pk_mul_f32 v[132:133], v[38:39], s[22:23]
	v_pk_add_f32 v[56:57], v[96:97], v[0:1]
	v_pk_fma_f32 v[136:137], v[30:31], s[12:13], v[132:133] neg_lo:[1,0,0] neg_hi:[1,0,0]
	v_pk_fma_f32 v[138:139], v[30:31], s[12:13], v[132:133]
	v_pk_fma_f32 v[96:97], v[22:23], s[4:5], v[102:103] neg_lo:[0,0,1] neg_hi:[0,0,1]
	v_mov_b32_e32 v137, v139
	v_pk_add_f32 v[118:119], v[136:137], v[118:119]
	ds_write2_b64 v43, v[78:79], v[118:119] offset0:96 offset1:184
	v_pk_fma_f32 v[78:79], v[4:5], s[16:17], v[114:115] neg_lo:[0,0,1] neg_hi:[0,0,1]
	v_pk_fma_f32 v[114:115], v[22:23], s[14:15], v[124:125] neg_lo:[0,0,1] neg_hi:[0,0,1]
	v_mov_b32_e32 v121, v79
	v_pk_fma_f32 v[78:79], v[12:13], s[34:35], v[122:123] neg_lo:[0,0,1] neg_hi:[0,0,1]
	v_pk_add_f32 v[8:9], v[8:9], v[0:1]
	v_mov_b32_e32 v127, v79
	v_pk_add_f32 v[78:79], v[120:121], v[0:1]
	v_mov_b32_e32 v25, v29
	;; [unrolled: 2-line block ×3, first 2 shown]
	v_pk_fma_f32 v[114:115], v[26:27], s[36:37], v[128:129] neg_lo:[0,0,1] neg_hi:[0,0,1]
	v_pk_add_f32 v[56:57], v[104:105], v[56:57]
	v_mov_b32_e32 v109, v97
	v_pk_fma_f32 v[96:97], v[26:27], s[16:17], v[106:107] neg_lo:[0,0,1] neg_hi:[0,0,1]
	v_pk_add_f32 v[2:3], v[2:3], v[32:33]
	v_pk_add_f32 v[8:9], v[24:25], v[8:9]
	v_pk_mul_f32 v[24:25], v[50:51], s[22:23]
	v_pk_add_f32 v[78:79], v[130:131], v[78:79]
	v_mov_b32_e32 v135, v115
	v_pk_fma_f32 v[114:115], v[30:31], s[12:13], v[132:133] neg_lo:[0,0,1] neg_hi:[0,0,1]
	v_pk_add_f32 v[56:57], v[108:109], v[56:57]
	v_mov_b32_e32 v113, v97
	v_pk_fma_f32 v[96:97], v[30:31], s[36:37], v[110:111] neg_lo:[0,0,1] neg_hi:[0,0,1]
	v_pk_add_f32 v[2:3], v[2:3], v[34:35]
	v_pk_fma_f32 v[32:33], v[22:23], s[12:13], v[24:25] neg_lo:[1,0,0] neg_hi:[1,0,0]
	v_pk_fma_f32 v[34:35], v[22:23], s[12:13], v[24:25]
	v_pk_add_f32 v[78:79], v[134:135], v[78:79]
	v_mov_b32_e32 v139, v115
	v_pk_add_f32 v[56:57], v[112:113], v[56:57]
	v_mov_b32_e32 v117, v97
	v_mov_b32_e32 v33, v35
	v_pk_add_f32 v[78:79], v[138:139], v[78:79]
	v_pk_add_f32 v[56:57], v[116:117], v[56:57]
	v_mov_b32_e32 v37, v45
	v_pk_add_f32 v[8:9], v[32:33], v[8:9]
	v_pk_mul_f32 v[32:33], v[52:53], s[26:27]
	ds_write2_b64 v42, v[78:79], v[56:57] offset0:16 offset1:104
	v_pk_add_f32 v[2:3], v[2:3], v[36:37]
	v_pk_fma_f32 v[36:37], v[26:27], s[14:15], v[32:33] neg_lo:[1,0,0] neg_hi:[1,0,0]
	v_pk_fma_f32 v[42:43], v[26:27], s[14:15], v[32:33]
	s_nop 0
	v_mov_b32_e32 v37, v43
	v_pk_add_f32 v[8:9], v[36:37], v[8:9]
	v_pk_mul_f32 v[36:37], v[38:39], s[30:31]
	s_nop 0
	v_pk_fma_f32 v[38:39], v[30:31], s[16:17], v[36:37] neg_lo:[1,0,0] neg_hi:[1,0,0]
	v_pk_fma_f32 v[44:45], v[30:31], s[16:17], v[36:37]
	s_nop 0
	v_mov_b32_e32 v39, v45
	v_pk_add_f32 v[8:9], v[38:39], v[8:9]
	ds_write2_b64 v21, v[2:3], v[8:9] offset1:88
	v_pk_fma_f32 v[8:9], v[22:23], s[36:37], v[84:85] neg_lo:[0,0,1] neg_hi:[0,0,1]
	v_pk_fma_f32 v[2:3], v[4:5], s[12:13], v[74:75] neg_lo:[0,0,1] neg_hi:[0,0,1]
	v_mov_b32_e32 v91, v9
	v_pk_fma_f32 v[8:9], v[26:27], s[4:5], v[88:89] neg_lo:[0,0,1] neg_hi:[0,0,1]
	v_mov_b32_e32 v81, v3
	v_mov_b32_e32 v95, v9
	v_pk_fma_f32 v[8:9], v[30:31], s[14:15], v[92:93] neg_lo:[0,0,1] neg_hi:[0,0,1]
	v_pk_fma_f32 v[2:3], v[12:13], s[24:25], v[82:83] neg_lo:[0,0,1] neg_hi:[0,0,1]
	v_mov_b32_e32 v99, v9
	v_pk_fma_f32 v[8:9], v[4:5], s[10:11], v[54:55] neg_lo:[0,0,1] neg_hi:[0,0,1]
	v_pk_fma_f32 v[38:39], v[12:13], s[14:15], v[60:61] neg_lo:[0,0,1] neg_hi:[0,0,1]
	v_mov_b32_e32 v59, v9
	v_mov_b32_e32 v87, v3
	v_pk_add_f32 v[2:3], v[80:81], v[0:1]
	v_pk_add_f32 v[8:9], v[58:59], v[0:1]
	v_mov_b32_e32 v65, v39
	v_pk_fma_f32 v[38:39], v[22:23], s[24:25], v[62:63] neg_lo:[0,0,1] neg_hi:[0,0,1]
	v_pk_add_f32 v[2:3], v[86:87], v[2:3]
	v_pk_add_f32 v[8:9], v[64:65], v[8:9]
	v_mov_b32_e32 v69, v39
	v_pk_fma_f32 v[38:39], v[26:27], s[28:29], v[66:67] neg_lo:[0,0,1] neg_hi:[0,0,1]
	;; [unrolled: 4-line block ×3, first 2 shown]
	v_pk_add_f32 v[2:3], v[94:95], v[2:3]
	v_pk_add_f32 v[8:9], v[72:73], v[8:9]
	v_mov_b32_e32 v77, v39
	v_pk_add_f32 v[2:3], v[98:99], v[2:3]
	v_pk_add_f32 v[8:9], v[76:77], v[8:9]
	ds_write2_b64 v41, v[2:3], v[8:9] offset0:64 offset1:152
	v_pk_fma_f32 v[2:3], v[4:5], s[4:5], v[6:7] neg_lo:[0,0,1] neg_hi:[0,0,1]
	s_nop 0
	v_mov_b32_e32 v11, v3
	v_pk_fma_f32 v[2:3], v[12:13], s[10:11], v[14:15] neg_lo:[0,0,1] neg_hi:[0,0,1]
	v_pk_add_f32 v[0:1], v[10:11], v[0:1]
	v_mov_b32_e32 v29, v3
	v_pk_fma_f32 v[2:3], v[22:23], s[12:13], v[24:25] neg_lo:[0,0,1] neg_hi:[0,0,1]
	v_pk_add_f32 v[0:1], v[28:29], v[0:1]
	;; [unrolled: 3-line block ×4, first 2 shown]
	v_mov_b32_e32 v45, v3
	v_pk_add_f32 v[0:1], v[44:45], v[0:1]
	ds_write_b64 v21, v[0:1] offset:7040
	s_waitcnt lgkmcnt(0)
	s_barrier
	s_and_saveexec_b64 s[4:5], s[0:1]
	s_cbranch_execz .LBB0_33
; %bb.32:
	v_mul_lo_u32 v0, s3, v18
	v_mul_lo_u32 v1, s2, v19
	v_mad_u64_u32 v[4:5], s[0:1], s2, v18, 0
	v_lshl_add_u32 v10, v20, 3, v40
	v_add3_u32 v5, v5, v1, v0
	ds_read2_b64 v[0:3], v10 offset1:88
	v_lshl_add_u64 v[4:5], v[4:5], 3, s[6:7]
	v_mov_b32_e32 v21, 0
	v_lshl_add_u64 v[8:9], v[16:17], 3, v[4:5]
	v_lshl_add_u64 v[4:5], v[20:21], 3, v[8:9]
	s_waitcnt lgkmcnt(0)
	global_store_dwordx2 v[4:5], v[0:1], off
	v_add_u32_e32 v4, 0x400, v10
	ds_read2_b64 v[4:7], v4 offset0:48 offset1:136
	v_add_u32_e32 v0, 0x58, v20
	v_mov_b32_e32 v1, v21
	v_lshl_add_u64 v[0:1], v[0:1], 3, v[8:9]
	global_store_dwordx2 v[0:1], v[2:3], off
	v_add_u32_e32 v0, 0xb0, v20
	v_mov_b32_e32 v1, v21
	v_lshl_add_u64 v[0:1], v[0:1], 3, v[8:9]
	s_waitcnt lgkmcnt(0)
	global_store_dwordx2 v[0:1], v[4:5], off
	v_add_u32_e32 v0, 0x108, v20
	v_mov_b32_e32 v1, v21
	v_lshl_add_u64 v[4:5], v[0:1], 3, v[8:9]
	v_add_u32_e32 v0, 0x800, v10
	ds_read2_b64 v[0:3], v0 offset0:96 offset1:184
	global_store_dwordx2 v[4:5], v[6:7], off
	v_add_u32_e32 v4, 0x160, v20
	v_mov_b32_e32 v5, v21
	v_lshl_add_u64 v[4:5], v[4:5], 3, v[8:9]
	s_waitcnt lgkmcnt(0)
	global_store_dwordx2 v[4:5], v[0:1], off
	v_add_u32_e32 v4, 0x1000, v10
	ds_read2_b64 v[4:7], v4 offset0:16 offset1:104
	v_add_u32_e32 v0, 0x1b8, v20
	v_mov_b32_e32 v1, v21
	v_lshl_add_u64 v[0:1], v[0:1], 3, v[8:9]
	global_store_dwordx2 v[0:1], v[2:3], off
	v_add_u32_e32 v0, 0x210, v20
	v_mov_b32_e32 v1, v21
	v_lshl_add_u64 v[0:1], v[0:1], 3, v[8:9]
	s_waitcnt lgkmcnt(0)
	global_store_dwordx2 v[0:1], v[4:5], off
	v_add_u32_e32 v0, 0x268, v20
	v_mov_b32_e32 v1, v21
	v_lshl_add_u64 v[4:5], v[0:1], 3, v[8:9]
	v_add_u32_e32 v0, 0x1400, v10
	ds_read2_b64 v[0:3], v0 offset0:64 offset1:152
	global_store_dwordx2 v[4:5], v[6:7], off
	v_add_u32_e32 v4, 0x2c0, v20
	v_mov_b32_e32 v5, v21
	v_lshl_add_u64 v[4:5], v[4:5], 3, v[8:9]
	s_waitcnt lgkmcnt(0)
	global_store_dwordx2 v[4:5], v[0:1], off
	ds_read_b64 v[4:5], v10 offset:7040
	v_add_u32_e32 v0, 0x318, v20
	v_mov_b32_e32 v1, v21
	v_lshl_add_u64 v[0:1], v[0:1], 3, v[8:9]
	v_add_u32_e32 v20, 0x370, v20
	global_store_dwordx2 v[0:1], v[2:3], off
	v_lshl_add_u64 v[0:1], v[20:21], 3, v[8:9]
	s_waitcnt lgkmcnt(0)
	global_store_dwordx2 v[0:1], v[4:5], off
.LBB0_33:
	s_endpgm
	.section	.rodata,"a",@progbits
	.p2align	6, 0x0
	.amdhsa_kernel fft_rtc_fwd_len968_factors_2_2_2_11_11_wgs_176_tpt_88_sp_op_CI_CI_unitstride_sbrr_C2R_dirReg
		.amdhsa_group_segment_fixed_size 0
		.amdhsa_private_segment_fixed_size 0
		.amdhsa_kernarg_size 104
		.amdhsa_user_sgpr_count 2
		.amdhsa_user_sgpr_dispatch_ptr 0
		.amdhsa_user_sgpr_queue_ptr 0
		.amdhsa_user_sgpr_kernarg_segment_ptr 1
		.amdhsa_user_sgpr_dispatch_id 0
		.amdhsa_user_sgpr_kernarg_preload_length 0
		.amdhsa_user_sgpr_kernarg_preload_offset 0
		.amdhsa_user_sgpr_private_segment_size 0
		.amdhsa_uses_dynamic_stack 0
		.amdhsa_enable_private_segment 0
		.amdhsa_system_sgpr_workgroup_id_x 1
		.amdhsa_system_sgpr_workgroup_id_y 0
		.amdhsa_system_sgpr_workgroup_id_z 0
		.amdhsa_system_sgpr_workgroup_info 0
		.amdhsa_system_vgpr_workitem_id 0
		.amdhsa_next_free_vgpr 140
		.amdhsa_next_free_sgpr 46
		.amdhsa_accum_offset 140
		.amdhsa_reserve_vcc 1
		.amdhsa_float_round_mode_32 0
		.amdhsa_float_round_mode_16_64 0
		.amdhsa_float_denorm_mode_32 3
		.amdhsa_float_denorm_mode_16_64 3
		.amdhsa_dx10_clamp 1
		.amdhsa_ieee_mode 1
		.amdhsa_fp16_overflow 0
		.amdhsa_tg_split 0
		.amdhsa_exception_fp_ieee_invalid_op 0
		.amdhsa_exception_fp_denorm_src 0
		.amdhsa_exception_fp_ieee_div_zero 0
		.amdhsa_exception_fp_ieee_overflow 0
		.amdhsa_exception_fp_ieee_underflow 0
		.amdhsa_exception_fp_ieee_inexact 0
		.amdhsa_exception_int_div_zero 0
	.end_amdhsa_kernel
	.text
.Lfunc_end0:
	.size	fft_rtc_fwd_len968_factors_2_2_2_11_11_wgs_176_tpt_88_sp_op_CI_CI_unitstride_sbrr_C2R_dirReg, .Lfunc_end0-fft_rtc_fwd_len968_factors_2_2_2_11_11_wgs_176_tpt_88_sp_op_CI_CI_unitstride_sbrr_C2R_dirReg
                                        ; -- End function
	.section	.AMDGPU.csdata,"",@progbits
; Kernel info:
; codeLenInByte = 9268
; NumSgprs: 52
; NumVgprs: 140
; NumAgprs: 0
; TotalNumVgprs: 140
; ScratchSize: 0
; MemoryBound: 0
; FloatMode: 240
; IeeeMode: 1
; LDSByteSize: 0 bytes/workgroup (compile time only)
; SGPRBlocks: 6
; VGPRBlocks: 17
; NumSGPRsForWavesPerEU: 52
; NumVGPRsForWavesPerEU: 140
; AccumOffset: 140
; Occupancy: 3
; WaveLimiterHint : 1
; COMPUTE_PGM_RSRC2:SCRATCH_EN: 0
; COMPUTE_PGM_RSRC2:USER_SGPR: 2
; COMPUTE_PGM_RSRC2:TRAP_HANDLER: 0
; COMPUTE_PGM_RSRC2:TGID_X_EN: 1
; COMPUTE_PGM_RSRC2:TGID_Y_EN: 0
; COMPUTE_PGM_RSRC2:TGID_Z_EN: 0
; COMPUTE_PGM_RSRC2:TIDIG_COMP_CNT: 0
; COMPUTE_PGM_RSRC3_GFX90A:ACCUM_OFFSET: 34
; COMPUTE_PGM_RSRC3_GFX90A:TG_SPLIT: 0
	.text
	.p2alignl 6, 3212836864
	.fill 256, 4, 3212836864
	.type	__hip_cuid_fe9a99ee6ef09991,@object ; @__hip_cuid_fe9a99ee6ef09991
	.section	.bss,"aw",@nobits
	.globl	__hip_cuid_fe9a99ee6ef09991
__hip_cuid_fe9a99ee6ef09991:
	.byte	0                               ; 0x0
	.size	__hip_cuid_fe9a99ee6ef09991, 1

	.ident	"AMD clang version 19.0.0git (https://github.com/RadeonOpenCompute/llvm-project roc-6.4.0 25133 c7fe45cf4b819c5991fe208aaa96edf142730f1d)"
	.section	".note.GNU-stack","",@progbits
	.addrsig
	.addrsig_sym __hip_cuid_fe9a99ee6ef09991
	.amdgpu_metadata
---
amdhsa.kernels:
  - .agpr_count:     0
    .args:
      - .actual_access:  read_only
        .address_space:  global
        .offset:         0
        .size:           8
        .value_kind:     global_buffer
      - .offset:         8
        .size:           8
        .value_kind:     by_value
      - .actual_access:  read_only
        .address_space:  global
        .offset:         16
        .size:           8
        .value_kind:     global_buffer
      - .actual_access:  read_only
        .address_space:  global
        .offset:         24
        .size:           8
        .value_kind:     global_buffer
      - .actual_access:  read_only
        .address_space:  global
        .offset:         32
        .size:           8
        .value_kind:     global_buffer
      - .offset:         40
        .size:           8
        .value_kind:     by_value
      - .actual_access:  read_only
        .address_space:  global
        .offset:         48
        .size:           8
        .value_kind:     global_buffer
      - .actual_access:  read_only
        .address_space:  global
        .offset:         56
        .size:           8
        .value_kind:     global_buffer
      - .offset:         64
        .size:           4
        .value_kind:     by_value
      - .actual_access:  read_only
        .address_space:  global
        .offset:         72
        .size:           8
        .value_kind:     global_buffer
      - .actual_access:  read_only
        .address_space:  global
        .offset:         80
        .size:           8
        .value_kind:     global_buffer
      - .actual_access:  read_only
        .address_space:  global
        .offset:         88
        .size:           8
        .value_kind:     global_buffer
      - .actual_access:  write_only
        .address_space:  global
        .offset:         96
        .size:           8
        .value_kind:     global_buffer
    .group_segment_fixed_size: 0
    .kernarg_segment_align: 8
    .kernarg_segment_size: 104
    .language:       OpenCL C
    .language_version:
      - 2
      - 0
    .max_flat_workgroup_size: 176
    .name:           fft_rtc_fwd_len968_factors_2_2_2_11_11_wgs_176_tpt_88_sp_op_CI_CI_unitstride_sbrr_C2R_dirReg
    .private_segment_fixed_size: 0
    .sgpr_count:     52
    .sgpr_spill_count: 0
    .symbol:         fft_rtc_fwd_len968_factors_2_2_2_11_11_wgs_176_tpt_88_sp_op_CI_CI_unitstride_sbrr_C2R_dirReg.kd
    .uniform_work_group_size: 1
    .uses_dynamic_stack: false
    .vgpr_count:     140
    .vgpr_spill_count: 0
    .wavefront_size: 64
amdhsa.target:   amdgcn-amd-amdhsa--gfx950
amdhsa.version:
  - 1
  - 2
...

	.end_amdgpu_metadata
